;; amdgpu-corpus repo=ROCm/rocFFT kind=compiled arch=gfx950 opt=O3
	.text
	.amdgcn_target "amdgcn-amd-amdhsa--gfx950"
	.amdhsa_code_object_version 6
	.protected	bluestein_single_fwd_len1274_dim1_dp_op_CI_CI ; -- Begin function bluestein_single_fwd_len1274_dim1_dp_op_CI_CI
	.globl	bluestein_single_fwd_len1274_dim1_dp_op_CI_CI
	.p2align	8
	.type	bluestein_single_fwd_len1274_dim1_dp_op_CI_CI,@function
bluestein_single_fwd_len1274_dim1_dp_op_CI_CI: ; @bluestein_single_fwd_len1274_dim1_dp_op_CI_CI
; %bb.0:
	s_load_dwordx4 s[8:11], s[0:1], 0x28
	v_mul_u32_u24_e32 v1, 0x169, v0
	v_mov_b32_e32 v181, 0
	v_add_u32_sdwa v182, s2, v1 dst_sel:DWORD dst_unused:UNUSED_PAD src0_sel:DWORD src1_sel:WORD_1
	v_mov_b32_e32 v183, v181
	s_waitcnt lgkmcnt(0)
	v_cmp_gt_u64_e32 vcc, s[8:9], v[182:183]
	s_and_saveexec_b64 s[2:3], vcc
	s_cbranch_execz .LBB0_23
; %bb.1:
	s_load_dwordx4 s[4:7], s[0:1], 0x18
	s_load_dwordx2 s[14:15], s[0:1], 0x0
	v_mov_b32_e32 v2, s10
	v_mov_b32_e32 v3, s11
	s_movk_i32 s2, 0xb6
	s_waitcnt lgkmcnt(0)
	s_load_dwordx4 s[8:11], s[4:5], 0x0
	v_mul_lo_u16_sdwa v1, v1, s2 dst_sel:DWORD dst_unused:UNUSED_PAD src0_sel:WORD_1 src1_sel:DWORD
	v_sub_u16_e32 v180, v0, v1
	v_lshlrev_b32_e32 v176, 4, v180
	v_mov_b32_e32 v177, v181
	s_waitcnt lgkmcnt(0)
	v_mad_u64_u32 v[0:1], s[2:3], s10, v182, 0
	v_mov_b32_e32 v4, v1
	v_mad_u64_u32 v[4:5], s[2:3], s11, v182, v[4:5]
	v_mov_b32_e32 v1, v4
	v_mad_u64_u32 v[4:5], s[2:3], s8, v180, 0
	v_mov_b32_e32 v6, v5
	v_mad_u64_u32 v[6:7], s[2:3], s9, v180, v[6:7]
	s_mul_i32 s2, s9, 0x27d
	s_mul_hi_u32 s3, s8, 0x27d
	v_mov_b32_e32 v5, v6
	v_lshl_add_u64 v[0:1], v[0:1], 4, v[2:3]
	s_add_i32 s3, s3, s2
	s_mul_i32 s2, s8, 0x27d
	v_lshl_add_u64 v[0:1], v[4:5], 4, v[0:1]
	v_lshl_add_u64 v[24:25], s[14:15], 0, v[176:177]
	s_lshl_b64 s[4:5], s[2:3], 4
	s_movk_i32 s10, 0x2000
	global_load_dwordx4 v[34:37], v176, s[14:15]
	v_lshl_add_u64 v[10:11], v[0:1], 0, s[4:5]
	global_load_dwordx4 v[2:5], v[0:1], off
	global_load_dwordx4 v[6:9], v[10:11], off
	v_add_co_u32_e32 v0, vcc, s10, v24
	s_mul_hi_u32 s10, s8, 0xfffffe39
	s_mulk_i32 s9, 0xfe39
	s_sub_i32 s10, s10, s8
	s_add_i32 s17, s10, s9
	s_mul_i32 s16, s8, 0xfffffe39
	v_addc_co_u32_e32 v1, vcc, 0, v25, vcc
	s_lshl_b64 s[8:9], s[16:17], 4
	global_load_dwordx4 v[30:33], v[0:1], off offset:2000
	v_lshl_add_u64 v[0:1], v[10:11], 0, s[8:9]
	s_movk_i32 s10, 0x3000
	v_lshl_add_u64 v[18:19], v[0:1], 0, s[4:5]
	v_add_co_u32_e32 v26, vcc, s10, v24
	global_load_dwordx4 v[38:41], v176, s[14:15] offset:2912
	global_load_dwordx4 v[10:13], v[0:1], off
	global_load_dwordx4 v[14:17], v[18:19], off
	v_addc_co_u32_e32 v27, vcc, 0, v25, vcc
	v_lshl_add_u64 v[0:1], v[18:19], 0, s[8:9]
	s_movk_i32 s8, 0x1000
	global_load_dwordx4 v[42:45], v[26:27], off offset:816
	v_add_co_u32_e32 v22, vcc, s8, v24
	v_accvgpr_write_b32 a0, v24
	s_nop 0
	v_addc_co_u32_e32 v23, vcc, 0, v25, vcc
	global_load_dwordx4 v[46:49], v[22:23], off offset:1728
	global_load_dwordx4 v[18:21], v[0:1], off
	v_accvgpr_write_b32 a1, v25
	v_lshl_add_u64 v[0:1], v[0:1], 0, s[4:5]
	global_load_dwordx4 v[50:53], v[26:27], off offset:3728
	global_load_dwordx4 v[22:25], v[0:1], off
	s_load_dwordx2 s[12:13], s[0:1], 0x38
	s_load_dwordx4 s[8:11], s[6:7], 0x0
	s_movk_i32 s4, 0x5b
	v_cmp_gt_u16_e64 s[4:5], s4, v180
	s_waitcnt vmcnt(11)
	v_accvgpr_write_b32 a6, v34
	s_waitcnt vmcnt(10)
	v_mul_f64 v[26:27], v[4:5], v[36:37]
	v_mul_f64 v[28:29], v[2:3], v[36:37]
	v_fmac_f64_e32 v[26:27], v[2:3], v[34:35]
	v_fma_f64 v[28:29], v[4:5], v[34:35], -v[28:29]
	v_accvgpr_write_b32 a7, v35
	v_accvgpr_write_b32 a8, v36
	;; [unrolled: 1-line block ×3, first 2 shown]
	ds_write_b128 v176, v[26:29]
	s_waitcnt vmcnt(8)
	v_mul_f64 v[2:3], v[8:9], v[32:33]
	v_mul_f64 v[4:5], v[6:7], v[32:33]
	v_fmac_f64_e32 v[2:3], v[6:7], v[30:31]
	v_fma_f64 v[4:5], v[8:9], v[30:31], -v[4:5]
	ds_write_b128 v176, v[2:5] offset:10192
	v_accvgpr_write_b32 a2, v30
	s_waitcnt vmcnt(6)
	v_mul_f64 v[6:7], v[12:13], v[40:41]
	v_mul_f64 v[8:9], v[10:11], v[40:41]
	v_fmac_f64_e32 v[6:7], v[10:11], v[38:39]
	v_fma_f64 v[8:9], v[12:13], v[38:39], -v[8:9]
	v_accvgpr_write_b32 a10, v38
	ds_write_b128 v176, v[6:9] offset:2912
	s_waitcnt vmcnt(4)
	v_mul_f64 v[2:3], v[16:17], v[44:45]
	v_mul_f64 v[4:5], v[14:15], v[44:45]
	v_fmac_f64_e32 v[2:3], v[14:15], v[42:43]
	v_fma_f64 v[4:5], v[16:17], v[42:43], -v[4:5]
	v_accvgpr_write_b32 a14, v42
	ds_write_b128 v176, v[2:5] offset:13104
	s_waitcnt vmcnt(3)
	v_accvgpr_write_b32 a18, v46
	s_waitcnt vmcnt(2)
	v_mul_f64 v[6:7], v[20:21], v[48:49]
	v_mul_f64 v[8:9], v[18:19], v[48:49]
	s_waitcnt vmcnt(1)
	v_accvgpr_write_b32 a22, v50
	s_waitcnt vmcnt(0)
	v_mul_f64 v[2:3], v[24:25], v[52:53]
	v_mul_f64 v[4:5], v[22:23], v[52:53]
	v_accvgpr_write_b32 a3, v31
	v_accvgpr_write_b32 a4, v32
	;; [unrolled: 1-line block ×9, first 2 shown]
	v_fmac_f64_e32 v[6:7], v[18:19], v[46:47]
	v_accvgpr_write_b32 a19, v47
	v_accvgpr_write_b32 a20, v48
	;; [unrolled: 1-line block ×3, first 2 shown]
	v_fma_f64 v[8:9], v[20:21], v[46:47], -v[8:9]
	v_fmac_f64_e32 v[2:3], v[22:23], v[50:51]
	v_accvgpr_write_b32 a23, v51
	v_accvgpr_write_b32 a24, v52
	;; [unrolled: 1-line block ×3, first 2 shown]
	v_fma_f64 v[4:5], v[24:25], v[50:51], -v[4:5]
	ds_write_b128 v176, v[6:9] offset:5824
	ds_write_b128 v176, v[2:5] offset:16016
	s_and_saveexec_b64 s[6:7], s[4:5]
	s_cbranch_execz .LBB0_3
; %bb.2:
	v_accvgpr_read_b32 v13, a1
	v_accvgpr_read_b32 v12, a0
	v_lshl_add_u64 v[8:9], s[16:17], 4, v[0:1]
	v_add_co_u32_e32 v4, vcc, 0x2000, v12
	global_load_dwordx4 v[0:3], v[8:9], off
	s_nop 0
	v_addc_co_u32_e32 v5, vcc, 0, v13, vcc
	v_lshl_add_u64 v[8:9], s[2:3], 4, v[8:9]
	s_movk_i32 s2, 0x4000
	v_add_co_u32_e32 v12, vcc, s2, v12
	global_load_dwordx4 v[4:7], v[4:5], off offset:544
	s_nop 0
	v_addc_co_u32_e32 v13, vcc, 0, v13, vcc
	global_load_dwordx4 v[8:11], v[8:9], off
	s_waitcnt vmcnt(1)
	v_mul_f64 v[16:17], v[2:3], v[6:7]
	global_load_dwordx4 v[12:15], v[12:13], off offset:2544
	v_mul_f64 v[18:19], v[0:1], v[6:7]
	v_fmac_f64_e32 v[16:17], v[0:1], v[4:5]
	v_fma_f64 v[18:19], v[2:3], v[4:5], -v[18:19]
	s_waitcnt vmcnt(0)
	v_mul_f64 v[6:7], v[10:11], v[14:15]
	v_mul_f64 v[14:15], v[8:9], v[14:15]
	v_fmac_f64_e32 v[6:7], v[8:9], v[12:13]
	v_fma_f64 v[8:9], v[10:11], v[12:13], -v[14:15]
	ds_write_b128 v176, v[16:19] offset:8736
	ds_write_b128 v176, v[6:9] offset:18928
.LBB0_3:
	s_or_b64 exec, exec, s[6:7]
	s_waitcnt lgkmcnt(0)
	s_barrier
	ds_read_b128 v[44:47], v176
	ds_read_b128 v[36:39], v176 offset:2912
	ds_read_b128 v[52:55], v176 offset:10192
	;; [unrolled: 1-line block ×5, first 2 shown]
                                        ; implicit-def: $vgpr24_vgpr25
                                        ; implicit-def: $vgpr40_vgpr41
	s_and_saveexec_b64 s[2:3], s[4:5]
	s_cbranch_execz .LBB0_5
; %bb.4:
	ds_read_b128 v[24:27], v176 offset:8736
	ds_read_b128 v[40:43], v176 offset:18928
.LBB0_5:
	s_or_b64 exec, exec, s[2:3]
	s_load_dwordx2 s[0:1], s[0:1], 0x8
	s_mov_b64 s[2:3], 0x222
	v_lshl_add_u64 v[0:1], v[180:181], 0, s[2:3]
	s_waitcnt lgkmcnt(0)
	v_add_f64 v[76:77], v[44:45], -v[52:53]
	v_add_f64 v[78:79], v[46:47], -v[54:55]
	;; [unrolled: 1-line block ×8, first 2 shown]
	v_lshlrev_b16_e32 v1, 1, v180
	v_lshlrev_b32_e32 v177, 5, v180
	v_fma_f64 v[72:73], v[44:45], 2.0, -v[76:77]
	v_fma_f64 v[74:75], v[46:47], 2.0, -v[78:79]
	;; [unrolled: 1-line block ×8, first 2 shown]
	v_lshlrev_b32_e32 v183, 4, v1
	v_lshlrev_b32_e32 v181, 5, v0
	s_barrier
	ds_write_b128 v183, v[72:75]
	ds_write_b128 v183, v[76:79] offset:16
	ds_write_b128 v177, v[80:83] offset:5824
	;; [unrolled: 1-line block ×5, first 2 shown]
	s_and_saveexec_b64 s[2:3], s[4:5]
	s_cbranch_execz .LBB0_7
; %bb.6:
	ds_write_b128 v181, v[96:99]
	ds_write_b128 v181, v[100:103] offset:16
.LBB0_7:
	s_or_b64 exec, exec, s[2:3]
	s_movk_i32 s2, 0x62
	v_cmp_gt_u16_e64 s[2:3], s2, v180
	s_waitcnt lgkmcnt(0)
	s_barrier
	s_waitcnt lgkmcnt(0)
                                        ; implicit-def: $vgpr104_vgpr105
                                        ; implicit-def: $vgpr108_vgpr109
                                        ; implicit-def: $vgpr112_vgpr113
                                        ; implicit-def: $vgpr116_vgpr117
                                        ; implicit-def: $vgpr120_vgpr121
	s_and_saveexec_b64 s[6:7], s[2:3]
	s_cbranch_execz .LBB0_9
; %bb.8:
	ds_read_b128 v[72:75], v176
	ds_read_b128 v[76:79], v176 offset:1568
	ds_read_b128 v[80:83], v176 offset:3136
	ds_read_b128 v[84:87], v176 offset:4704
	ds_read_b128 v[88:91], v176 offset:6272
	ds_read_b128 v[92:95], v176 offset:7840
	ds_read_b128 v[96:99], v176 offset:9408
	ds_read_b128 v[100:103], v176 offset:10976
	ds_read_b128 v[104:107], v176 offset:12544
	ds_read_b128 v[108:111], v176 offset:14112
	ds_read_b128 v[112:115], v176 offset:15680
	ds_read_b128 v[116:119], v176 offset:17248
	ds_read_b128 v[120:123], v176 offset:18816
.LBB0_9:
	s_or_b64 exec, exec, s[6:7]
	v_and_b32_e32 v0, 1, v180
	v_accvgpr_write_b32 a26, v0
	v_mul_u32_u24_e32 v0, 12, v0
	v_lshlrev_b32_e32 v0, 4, v0
	global_load_dwordx4 v[24:27], v0, s[0:1]
	global_load_dwordx4 v[28:31], v0, s[0:1] offset:16
	global_load_dwordx4 v[32:35], v0, s[0:1] offset:32
	;; [unrolled: 1-line block ×11, first 2 shown]
	s_mov_b32 s21, 0xbfddbe06
	s_mov_b32 s20, 0x4267c47c
	;; [unrolled: 1-line block ×30, first 2 shown]
	s_waitcnt lgkmcnt(0)
	s_barrier
	s_waitcnt vmcnt(11)
	v_mul_f64 v[0:1], v[78:79], v[26:27]
	v_mul_f64 v[124:125], v[76:77], v[26:27]
	s_waitcnt vmcnt(10)
	v_mul_f64 v[2:3], v[82:83], v[30:31]
	v_mul_f64 v[126:127], v[80:81], v[30:31]
	s_waitcnt vmcnt(9)
	v_mul_f64 v[4:5], v[86:87], v[34:35]
	s_waitcnt vmcnt(8)
	v_mul_f64 v[6:7], v[90:91], v[38:39]
	v_fma_f64 v[0:1], v[76:77], v[24:25], -v[0:1]
	v_fmac_f64_e32 v[124:125], v[78:79], v[24:25]
	v_fma_f64 v[2:3], v[80:81], v[28:29], -v[2:3]
	v_fmac_f64_e32 v[126:127], v[82:83], v[28:29]
	s_waitcnt vmcnt(1)
	v_mul_f64 v[20:21], v[118:119], v[62:63]
	s_waitcnt vmcnt(0)
	v_mul_f64 v[22:23], v[122:123], v[58:59]
	v_mul_f64 v[164:165], v[120:121], v[58:59]
	;; [unrolled: 1-line block ×3, first 2 shown]
	v_fma_f64 v[80:81], v[84:85], v[32:33], -v[4:5]
	v_fma_f64 v[82:83], v[88:89], v[36:37], -v[6:7]
	;; [unrolled: 1-line block ×4, first 2 shown]
	v_fmac_f64_e32 v[164:165], v[122:123], v[56:57]
	v_fmac_f64_e32 v[162:163], v[118:119], v[60:61]
	v_add_f64 v[76:77], v[124:125], -v[164:165]
	v_accvgpr_write_b32 a29, v1
	v_add_f64 v[140:141], v[0:1], -v[6:7]
	v_accvgpr_write_b32 a49, v5
	v_add_f64 v[166:167], v[0:1], v[6:7]
	v_add_f64 v[172:173], v[2:3], v[4:5]
	v_add_f64 v[78:79], v[126:127], -v[162:163]
	v_accvgpr_write_b32 a28, v0
	v_accvgpr_write_b32 a51, v7
	v_accvgpr_write_b32 a31, v3
	v_accvgpr_write_b32 a48, v4
	v_add_f64 v[142:143], v[2:3], -v[4:5]
	v_mul_f64 v[0:1], v[76:77], s[20:21]
	v_mul_f64 v[4:5], v[140:141], s[20:21]
	;; [unrolled: 1-line block ×4, first 2 shown]
	v_add_f64 v[188:189], v[124:125], v[164:165]
	v_accvgpr_write_b32 a50, v6
	v_accvgpr_write_b32 a30, v2
	v_mul_f64 v[2:3], v[78:79], s[26:27]
	v_mul_f64 v[6:7], v[142:143], s[26:27]
	v_accvgpr_write_b32 a53, v1
	v_accvgpr_write_b32 a57, v5
	v_fmac_f64_e32 v[132:133], v[86:87], v[32:33]
	v_fmac_f64_e32 v[158:159], v[114:115], v[68:69]
	v_add_f64 v[184:185], v[126:127], v[162:163]
	v_accvgpr_write_b32 a52, v0
	v_fma_f64 v[0:1], s[6:7], v[166:167], v[0:1]
	v_accvgpr_write_b32 a55, v3
	v_accvgpr_write_b32 a56, v4
	v_fma_f64 v[4:5], v[188:189], s[6:7], -v[4:5]
	v_accvgpr_write_b32 a59, v7
	v_mul_f64 v[18:19], v[114:115], v[70:71]
	v_accvgpr_write_b32 a54, v2
	v_fma_f64 v[2:3], s[16:17], v[172:173], v[2:3]
	v_accvgpr_write_b32 a58, v6
	v_fma_f64 v[6:7], v[184:185], s[16:17], -v[6:7]
	v_add_f64 v[0:1], v[72:73], v[0:1]
	v_add_f64 v[4:5], v[74:75], v[4:5]
	v_add_f64 v[144:145], v[132:133], -v[158:159]
	v_fma_f64 v[18:19], v[112:113], v[68:69], -v[18:19]
	v_add_f64 v[0:1], v[2:3], v[0:1]
	v_add_f64 v[2:3], v[6:7], v[4:5]
	v_mul_f64 v[4:5], v[144:145], s[34:35]
	v_add_f64 v[190:191], v[80:81], v[18:19]
	v_accvgpr_write_b32 a61, v5
	v_accvgpr_write_b32 a60, v4
	v_fma_f64 v[4:5], s[18:19], v[190:191], v[4:5]
	v_add_f64 v[122:123], v[80:81], -v[18:19]
	v_mul_f64 v[134:135], v[88:89], v[38:39]
	v_mul_f64 v[154:155], v[108:109], v[66:67]
	v_add_f64 v[0:1], v[4:5], v[0:1]
	v_mul_f64 v[4:5], v[122:123], s[34:35]
	v_mul_f64 v[10:11], v[98:99], v[54:55]
	v_fmac_f64_e32 v[134:135], v[90:91], v[36:37]
	v_fmac_f64_e32 v[154:155], v[110:111], v[64:65]
	v_add_f64 v[194:195], v[132:133], v[158:159]
	v_accvgpr_write_b32 a63, v5
	v_mul_f64 v[148:149], v[96:97], v[54:55]
	v_mul_f64 v[16:17], v[110:111], v[66:67]
	v_fma_f64 v[10:11], v[96:97], v[52:53], -v[10:11]
	v_accvgpr_write_b32 a62, v4
	v_fma_f64 v[4:5], v[194:195], s[18:19], -v[4:5]
	v_add_f64 v[96:97], v[134:135], -v[154:155]
	v_fma_f64 v[16:17], v[108:109], v[64:65], -v[16:17]
	v_add_f64 v[2:3], v[4:5], v[2:3]
	v_mul_f64 v[4:5], v[96:97], s[30:31]
	v_add_f64 v[196:197], v[82:83], v[16:17]
	v_accvgpr_write_b32 a65, v5
	v_fmac_f64_e32 v[148:149], v[98:99], v[52:53]
	v_accvgpr_write_b32 a64, v4
	v_fma_f64 v[4:5], s[24:25], v[196:197], v[4:5]
	v_add_f64 v[98:99], v[82:83], -v[16:17]
	v_mul_f64 v[146:147], v[92:93], v[42:43]
	v_mul_f64 v[152:153], v[104:105], v[46:47]
	v_add_f64 v[0:1], v[4:5], v[0:1]
	v_mul_f64 v[4:5], v[98:99], s[30:31]
	v_fmac_f64_e32 v[146:147], v[94:95], v[40:41]
	v_fmac_f64_e32 v[152:153], v[106:107], v[44:45]
	v_add_f64 v[200:201], v[134:135], v[154:155]
	v_accvgpr_write_b32 a67, v5
	v_mul_f64 v[8:9], v[94:95], v[42:43]
	v_mul_f64 v[14:15], v[106:107], v[46:47]
	v_accvgpr_write_b32 a66, v4
	v_fma_f64 v[4:5], v[200:201], s[24:25], -v[4:5]
	v_add_f64 v[174:175], v[146:147], -v[152:153]
	v_fma_f64 v[8:9], v[92:93], v[40:41], -v[8:9]
	v_fma_f64 v[14:15], v[104:105], v[44:45], -v[14:15]
	v_add_f64 v[2:3], v[4:5], v[2:3]
	v_mul_f64 v[4:5], v[174:175], s[36:37]
	v_add_f64 v[206:207], v[8:9], v[14:15]
	v_accvgpr_write_b32 a69, v5
	v_accvgpr_write_b32 a68, v4
	v_fma_f64 v[4:5], s[22:23], v[206:207], v[4:5]
	v_add_f64 v[186:187], v[8:9], -v[14:15]
	v_mul_f64 v[150:151], v[100:101], v[50:51]
	v_add_f64 v[0:1], v[4:5], v[0:1]
	v_mul_f64 v[4:5], v[186:187], s[36:37]
	v_fmac_f64_e32 v[150:151], v[102:103], v[48:49]
	v_add_f64 v[212:213], v[146:147], v[152:153]
	v_accvgpr_write_b32 a71, v5
	v_mul_f64 v[12:13], v[102:103], v[50:51]
	v_accvgpr_write_b32 a70, v4
	v_fma_f64 v[4:5], v[212:213], s[22:23], -v[4:5]
	v_add_f64 v[178:179], v[148:149], -v[150:151]
	v_fma_f64 v[12:13], v[100:101], v[48:49], -v[12:13]
	v_add_f64 v[2:3], v[4:5], v[2:3]
	v_mul_f64 v[4:5], v[178:179], s[38:39]
	v_add_f64 v[226:227], v[10:11], v[12:13]
	v_accvgpr_write_b32 a73, v5
	v_add_f64 v[192:193], v[10:11], -v[12:13]
	v_accvgpr_write_b32 a32, v80
	v_accvgpr_write_b32 a72, v4
	v_fma_f64 v[4:5], s[28:29], v[226:227], v[4:5]
	v_add_f64 v[230:231], v[148:149], v[150:151]
	v_mul_f64 v[198:199], v[192:193], s[38:39]
	v_accvgpr_write_b32 a33, v81
	v_accvgpr_write_b32 a34, v82
	v_add_f64 v[80:81], v[4:5], v[0:1]
	v_fma_f64 v[0:1], v[230:231], s[28:29], -v[198:199]
	v_mul_f64 v[202:203], v[76:77], s[26:27]
	v_accvgpr_write_b32 a35, v83
	v_add_f64 v[82:83], v[0:1], v[2:3]
	v_fma_f64 v[0:1], s[16:17], v[166:167], v[202:203]
	v_mul_f64 v[204:205], v[78:79], s[30:31]
	v_add_f64 v[0:1], v[72:73], v[0:1]
	v_fma_f64 v[2:3], s[24:25], v[172:173], v[204:205]
	v_mul_f64 v[210:211], v[140:141], s[26:27]
	v_add_f64 v[0:1], v[2:3], v[0:1]
	v_fma_f64 v[2:3], v[188:189], s[16:17], -v[210:211]
	v_mul_f64 v[216:217], v[142:143], s[30:31]
	v_add_f64 v[2:3], v[74:75], v[2:3]
	v_fma_f64 v[4:5], v[184:185], s[24:25], -v[216:217]
	v_mul_f64 v[208:209], v[144:145], s[38:39]
	v_add_f64 v[2:3], v[4:5], v[2:3]
	v_fma_f64 v[4:5], s[28:29], v[190:191], v[208:209]
	v_mul_f64 v[218:219], v[122:123], s[38:39]
	v_add_f64 v[0:1], v[4:5], v[0:1]
	v_fma_f64 v[4:5], v[194:195], s[28:29], -v[218:219]
	v_mul_f64 v[214:215], v[96:97], s[42:43]
	v_add_f64 v[2:3], v[4:5], v[2:3]
	v_fma_f64 v[4:5], s[22:23], v[196:197], v[214:215]
	;; [unrolled: 6-line block ×3, first 2 shown]
	v_mul_f64 v[228:229], v[186:187], s[40:41]
	s_mov_b32 s21, 0x3fddbe06
	v_add_f64 v[0:1], v[4:5], v[0:1]
	v_fma_f64 v[4:5], v[212:213], s[18:19], -v[228:229]
	v_mul_f64 v[224:225], v[178:179], s[20:21]
	v_add_f64 v[2:3], v[4:5], v[2:3]
	v_fma_f64 v[4:5], s[6:7], v[226:227], v[224:225]
	v_mul_f64 v[232:233], v[192:193], s[20:21]
	v_add_f64 v[100:101], v[4:5], v[0:1]
	v_fma_f64 v[0:1], v[230:231], s[6:7], -v[232:233]
	v_mul_f64 v[234:235], v[76:77], s[34:35]
	v_add_f64 v[102:103], v[0:1], v[2:3]
	v_fma_f64 v[0:1], s[18:19], v[166:167], v[234:235]
	v_mul_f64 v[236:237], v[78:79], s[38:39]
	v_add_f64 v[0:1], v[72:73], v[0:1]
	v_fma_f64 v[2:3], s[28:29], v[172:173], v[236:237]
	v_mul_f64 v[240:241], v[140:141], s[34:35]
	v_add_f64 v[0:1], v[2:3], v[0:1]
	v_fma_f64 v[2:3], v[188:189], s[18:19], -v[240:241]
	v_mul_f64 v[244:245], v[142:143], s[38:39]
	v_add_f64 v[2:3], v[74:75], v[2:3]
	v_fma_f64 v[4:5], v[184:185], s[28:29], -v[244:245]
	v_mul_f64 v[238:239], v[144:145], s[44:45]
	v_add_f64 v[2:3], v[4:5], v[2:3]
	v_fma_f64 v[4:5], s[24:25], v[190:191], v[238:239]
	v_mul_f64 v[248:249], v[122:123], s[44:45]
	v_add_f64 v[0:1], v[4:5], v[0:1]
	v_fma_f64 v[4:5], v[194:195], s[24:25], -v[248:249]
	v_mul_f64 v[242:243], v[96:97], s[20:21]
	v_add_f64 v[2:3], v[4:5], v[2:3]
	v_fma_f64 v[4:5], s[6:7], v[196:197], v[242:243]
	;; [unrolled: 6-line block ×5, first 2 shown]
	v_mul_f64 v[116:117], v[78:79], s[42:43]
	v_add_f64 v[0:1], v[72:73], v[0:1]
	v_fma_f64 v[2:3], s[22:23], v[172:173], v[116:117]
	v_mul_f64 v[160:161], v[140:141], s[30:31]
	v_add_f64 v[0:1], v[2:3], v[0:1]
	v_fma_f64 v[2:3], v[188:189], s[24:25], -v[160:161]
	v_mul_f64 v[84:85], v[142:143], s[42:43]
	v_add_f64 v[2:3], v[74:75], v[2:3]
	v_fma_f64 v[4:5], v[184:185], s[22:23], -v[84:85]
	v_mul_f64 v[118:119], v[144:145], s[20:21]
	v_add_f64 v[2:3], v[4:5], v[2:3]
	v_fma_f64 v[4:5], s[6:7], v[190:191], v[118:119]
	v_mul_f64 v[88:89], v[122:123], s[20:21]
	v_add_f64 v[0:1], v[4:5], v[0:1]
	v_fma_f64 v[4:5], v[194:195], s[6:7], -v[88:89]
	v_mul_f64 v[120:121], v[96:97], s[34:35]
	v_add_f64 v[2:3], v[4:5], v[2:3]
	v_fma_f64 v[4:5], s[18:19], v[196:197], v[120:121]
	v_mul_f64 v[90:91], v[98:99], s[34:35]
	s_mov_b32 s35, 0x3fcea1e5
	s_mov_b32 s34, s38
	v_add_f64 v[0:1], v[4:5], v[0:1]
	v_fma_f64 v[4:5], v[200:201], s[18:19], -v[90:91]
	v_mul_f64 v[156:157], v[174:175], s[34:35]
	v_add_f64 v[2:3], v[4:5], v[2:3]
	v_fma_f64 v[4:5], s[28:29], v[206:207], v[156:157]
	v_mul_f64 v[92:93], v[186:187], s[34:35]
	s_mov_b32 s43, 0x3fea55e2
	s_mov_b32 s42, s26
	v_add_f64 v[0:1], v[4:5], v[0:1]
	v_fma_f64 v[4:5], v[212:213], s[28:29], -v[92:93]
	v_mul_f64 v[86:87], v[178:179], s[42:43]
	v_add_f64 v[2:3], v[4:5], v[2:3]
	v_fma_f64 v[4:5], s[16:17], v[226:227], v[86:87]
	v_mul_f64 v[94:95], v[192:193], s[42:43]
	v_add_f64 v[128:129], v[4:5], v[0:1]
	v_fma_f64 v[0:1], v[230:231], s[16:17], -v[94:95]
	v_mul_f64 v[108:109], v[76:77], s[36:37]
	v_add_f64 v[130:131], v[0:1], v[2:3]
	v_fma_f64 v[0:1], s[22:23], v[166:167], v[108:109]
	v_mul_f64 v[110:111], v[78:79], s[40:41]
	v_accvgpr_write_b32 a39, v11
	v_add_f64 v[0:1], v[72:73], v[0:1]
	v_fma_f64 v[2:3], s[18:19], v[172:173], v[110:111]
	v_mul_f64 v[6:7], v[140:141], s[36:37]
	v_accvgpr_write_b32 a38, v10
	v_add_f64 v[2:3], v[2:3], v[0:1]
	v_fma_f64 v[0:1], v[188:189], s[22:23], -v[6:7]
	v_mul_f64 v[10:11], v[142:143], s[40:41]
	v_add_f64 v[0:1], v[74:75], v[0:1]
	v_fma_f64 v[4:5], v[184:185], s[18:19], -v[10:11]
	v_accvgpr_write_b32 a37, v9
	v_accvgpr_write_b32 a41, v13
	v_add_f64 v[4:5], v[4:5], v[0:1]
	v_mul_f64 v[0:1], v[144:145], s[26:27]
	v_accvgpr_write_b32 a36, v8
	v_accvgpr_write_b32 a40, v12
	v_fma_f64 v[8:9], s[16:17], v[190:191], v[0:1]
	v_mul_f64 v[12:13], v[122:123], s[26:27]
	v_add_f64 v[8:9], v[8:9], v[2:3]
	v_fma_f64 v[2:3], v[194:195], s[16:17], -v[12:13]
	v_accvgpr_write_b32 a43, v15
	v_add_f64 v[4:5], v[2:3], v[4:5]
	v_mul_f64 v[2:3], v[96:97], s[34:35]
	v_accvgpr_write_b32 a42, v14
	v_fma_f64 v[14:15], s[28:29], v[196:197], v[2:3]
	v_accvgpr_write_b32 a45, v17
	v_add_f64 v[8:9], v[14:15], v[8:9]
	v_mul_f64 v[14:15], v[98:99], s[34:35]
	v_accvgpr_write_b32 a47, v19
	v_accvgpr_write_b32 a44, v16
	v_fma_f64 v[16:17], v[200:201], s[28:29], -v[14:15]
	v_accvgpr_write_b32 a46, v18
	v_add_f64 v[18:19], v[16:17], v[4:5]
	v_mul_f64 v[4:5], v[174:175], s[20:21]
	v_fma_f64 v[16:17], s[6:7], v[206:207], v[4:5]
	v_add_f64 v[20:21], v[16:17], v[8:9]
	v_mul_f64 v[16:17], v[186:187], s[20:21]
	v_fma_f64 v[8:9], v[212:213], s[6:7], -v[16:17]
	v_add_f64 v[22:23], v[8:9], v[18:19]
	v_mul_f64 v[8:9], v[178:179], s[30:31]
	v_fma_f64 v[18:19], s[24:25], v[226:227], v[8:9]
	v_add_f64 v[136:137], v[18:19], v[20:21]
	v_mul_f64 v[18:19], v[192:193], s[30:31]
	v_fma_f64 v[20:21], v[230:231], s[24:25], -v[18:19]
	v_mul_f64 v[76:77], v[76:77], s[38:39]
	v_add_f64 v[138:139], v[20:21], v[22:23]
	v_fma_f64 v[20:21], s[28:29], v[166:167], v[76:77]
	v_mul_f64 v[78:79], v[78:79], s[20:21]
	v_add_f64 v[20:21], v[72:73], v[20:21]
	v_fma_f64 v[22:23], s[6:7], v[172:173], v[78:79]
	v_mul_f64 v[168:169], v[140:141], s[38:39]
	v_add_f64 v[22:23], v[22:23], v[20:21]
	v_fma_f64 v[20:21], v[188:189], s[28:29], -v[168:169]
	v_mul_f64 v[170:171], v[142:143], s[20:21]
	v_add_f64 v[20:21], v[74:75], v[20:21]
	v_fma_f64 v[140:141], v[184:185], s[6:7], -v[170:171]
	v_add_f64 v[140:141], v[140:141], v[20:21]
	v_mul_f64 v[20:21], v[144:145], s[36:37]
	v_fma_f64 v[142:143], s[22:23], v[190:191], v[20:21]
	v_mul_f64 v[144:145], v[122:123], s[36:37]
	v_add_f64 v[142:143], v[142:143], v[22:23]
	v_fma_f64 v[22:23], v[194:195], s[22:23], -v[144:145]
	v_add_f64 v[122:123], v[22:23], v[140:141]
	v_mul_f64 v[22:23], v[96:97], s[42:43]
	v_fma_f64 v[96:97], s[16:17], v[196:197], v[22:23]
	v_add_f64 v[140:141], v[96:97], v[142:143]
	v_mul_f64 v[96:97], v[98:99], s[42:43]
	v_fma_f64 v[98:99], v[200:201], s[16:17], -v[96:97]
	v_add_f64 v[122:123], v[98:99], v[122:123]
	v_mul_f64 v[98:99], v[174:175], s[30:31]
	v_fma_f64 v[142:143], s[24:25], v[206:207], v[98:99]
	v_mul_f64 v[174:175], v[186:187], s[30:31]
	v_add_f64 v[140:141], v[142:143], v[140:141]
	v_fma_f64 v[142:143], v[212:213], s[24:25], -v[174:175]
	v_add_f64 v[142:143], v[142:143], v[122:123]
	v_mul_f64 v[122:123], v[178:179], s[40:41]
	v_mul_f64 v[186:187], v[192:193], s[40:41]
	v_fma_f64 v[178:179], s[18:19], v[226:227], v[122:123]
	v_add_f64 v[140:141], v[178:179], v[140:141]
	v_fma_f64 v[178:179], v[230:231], s[18:19], -v[186:187]
	v_add_f64 v[142:143], v[178:179], v[142:143]
	v_lshrrev_b32_e32 v178, 1, v180
	v_accvgpr_write_b32 a27, v178
	v_mov_b32_e32 v179, 0
	s_and_saveexec_b64 s[20:21], s[2:3]
	s_cbranch_execz .LBB0_11
; %bb.10:
	v_mul_f64 v[178:179], v[230:231], s[18:19]
	v_add_f64 v[178:179], v[186:187], v[178:179]
	v_mul_f64 v[186:187], v[212:213], s[24:25]
	v_add_f64 v[174:175], v[174:175], v[186:187]
	;; [unrolled: 2-line block ×6, first 2 shown]
	v_mul_f64 v[170:171], v[226:227], s[18:19]
	v_add_f64 v[122:123], v[170:171], -v[122:123]
	v_mul_f64 v[170:171], v[206:207], s[24:25]
	v_add_f64 v[98:99], v[170:171], -v[98:99]
	;; [unrolled: 2-line block ×6, first 2 shown]
	v_add_f64 v[76:77], v[72:73], v[76:77]
	v_add_f64 v[76:77], v[78:79], v[76:77]
	;; [unrolled: 1-line block ×8, first 2 shown]
	v_mul_f64 v[96:97], v[166:167], s[6:7]
	v_add_f64 v[144:145], v[186:187], v[144:145]
	v_mul_f64 v[170:171], v[166:167], s[16:17]
	v_mul_f64 v[186:187], v[166:167], s[18:19]
	;; [unrolled: 1-line block ×3, first 2 shown]
	v_add_f64 v[76:77], v[122:123], v[20:21]
	v_mul_f64 v[122:123], v[166:167], s[22:23]
	v_mul_f64 v[166:167], v[230:231], s[24:25]
	v_add_f64 v[18:19], v[18:19], v[166:167]
	v_mul_f64 v[166:167], v[212:213], s[6:7]
	v_add_f64 v[144:145], v[174:175], v[144:145]
	v_add_f64 v[16:17], v[16:17], v[166:167]
	v_mul_f64 v[166:167], v[200:201], s[28:29]
	v_add_f64 v[78:79], v[178:179], v[144:145]
	v_mul_f64 v[144:145], v[188:189], s[22:23]
	;; [unrolled: 2-line block ×4, first 2 shown]
	v_add_f64 v[6:7], v[6:7], v[144:145]
	v_add_f64 v[10:11], v[10:11], v[166:167]
	;; [unrolled: 1-line block ×4, first 2 shown]
	v_mul_f64 v[10:11], v[226:227], s[24:25]
	v_add_f64 v[8:9], v[10:11], -v[8:9]
	v_mul_f64 v[10:11], v[206:207], s[6:7]
	v_add_f64 v[4:5], v[10:11], -v[4:5]
	;; [unrolled: 2-line block ×5, first 2 shown]
	v_add_f64 v[6:7], v[12:13], v[6:7]
	v_add_f64 v[10:11], v[10:11], -v[110:111]
	v_add_f64 v[108:109], v[72:73], v[108:109]
	v_mul_f64 v[20:21], v[188:189], s[24:25]
	v_add_f64 v[6:7], v[14:15], v[6:7]
	v_add_f64 v[10:11], v[10:11], v[108:109]
	v_mul_f64 v[166:167], v[172:173], s[16:17]
	v_mul_f64 v[178:179], v[172:173], s[24:25]
	;; [unrolled: 1-line block ×3, first 2 shown]
	v_add_f64 v[6:7], v[16:17], v[6:7]
	v_mul_f64 v[110:111], v[172:173], s[22:23]
	v_mul_f64 v[172:173], v[184:185], s[22:23]
	v_add_f64 v[0:1], v[0:1], v[10:11]
	v_add_f64 v[20:21], v[160:161], v[20:21]
	;; [unrolled: 1-line block ×4, first 2 shown]
	v_mul_f64 v[6:7], v[194:195], s[6:7]
	v_mul_f64 v[18:19], v[212:213], s[28:29]
	v_add_f64 v[84:85], v[84:85], v[172:173]
	v_add_f64 v[20:21], v[74:75], v[20:21]
	;; [unrolled: 1-line block ×3, first 2 shown]
	v_mul_f64 v[92:93], v[200:201], s[18:19]
	v_add_f64 v[6:7], v[88:89], v[6:7]
	v_add_f64 v[20:21], v[84:85], v[20:21]
	;; [unrolled: 1-line block ×4, first 2 shown]
	v_add_f64 v[98:99], v[98:99], -v[114:115]
	v_mul_f64 v[22:23], v[188:189], s[18:19]
	v_add_f64 v[0:1], v[4:5], v[0:1]
	v_mul_f64 v[4:5], v[190:191], s[6:7]
	v_add_f64 v[6:7], v[90:91], v[6:7]
	v_add_f64 v[110:111], v[110:111], -v[116:117]
	v_add_f64 v[98:99], v[72:73], v[98:99]
	v_mul_f64 v[144:145], v[184:185], s[16:17]
	v_mul_f64 v[12:13], v[184:185], s[24:25]
	;; [unrolled: 1-line block ×7, first 2 shown]
	v_add_f64 v[6:7], v[18:19], v[6:7]
	v_mul_f64 v[18:19], v[226:227], s[16:17]
	v_add_f64 v[4:5], v[4:5], -v[118:119]
	v_add_f64 v[98:99], v[110:111], v[98:99]
	v_add_f64 v[22:23], v[240:241], v[22:23]
	;; [unrolled: 1-line block ×3, first 2 shown]
	v_mul_f64 v[8:9], v[194:195], s[24:25]
	v_add_f64 v[18:19], v[18:19], -v[86:87]
	v_mul_f64 v[86:87], v[206:207], s[28:29]
	v_add_f64 v[120:121], v[190:191], -v[120:121]
	v_add_f64 v[4:5], v[4:5], v[98:99]
	v_add_f64 v[16:17], v[244:245], v[16:17]
	;; [unrolled: 1-line block ×3, first 2 shown]
	v_mul_f64 v[10:11], v[230:231], s[16:17]
	v_mul_f64 v[172:173], v[200:201], s[6:7]
	v_add_f64 v[86:87], v[86:87], -v[156:157]
	v_add_f64 v[4:5], v[120:121], v[4:5]
	v_add_f64 v[8:9], v[248:249], v[8:9]
	;; [unrolled: 1-line block ×4, first 2 shown]
	v_mul_f64 v[92:93], v[196:197], s[24:25]
	v_mul_f64 v[94:95], v[196:197], s[22:23]
	;; [unrolled: 1-line block ×4, first 2 shown]
	v_add_f64 v[4:5], v[86:87], v[4:5]
	v_add_f64 v[86:87], v[252:253], v[172:173]
	;; [unrolled: 1-line block ×7, first 2 shown]
	v_add_f64 v[18:19], v[84:85], -v[242:243]
	v_add_f64 v[84:85], v[186:187], -v[234:235]
	v_mul_f64 v[174:175], v[188:189], s[16:17]
	v_add_f64 v[14:15], v[14:15], -v[236:237]
	v_add_f64 v[84:85], v[72:73], v[84:85]
	v_add_f64 v[14:15], v[14:15], v[84:85]
	;; [unrolled: 1-line block ×3, first 2 shown]
	v_mul_f64 v[168:169], v[188:189], s[6:7]
	v_mul_f64 v[188:189], v[194:195], s[28:29]
	v_add_f64 v[22:23], v[192:193], -v[238:239]
	v_add_f64 v[12:13], v[216:217], v[12:13]
	v_add_f64 v[84:85], v[74:75], v[84:85]
	v_add_f64 v[86:87], v[170:171], -v[202:203]
	v_mul_f64 v[160:161], v[200:201], s[22:23]
	v_add_f64 v[14:15], v[22:23], v[14:15]
	v_add_f64 v[22:23], v[218:219], v[188:189]
	;; [unrolled: 1-line block ×3, first 2 shown]
	v_add_f64 v[84:85], v[178:179], -v[204:205]
	v_add_f64 v[86:87], v[72:73], v[86:87]
	v_add_f64 v[14:15], v[18:19], v[14:15]
	;; [unrolled: 1-line block ×4, first 2 shown]
	v_add_f64 v[22:23], v[184:185], -v[208:209]
	v_add_f64 v[84:85], v[84:85], v[86:87]
	v_add_f64 v[12:13], v[18:19], v[12:13]
	v_add_f64 v[18:19], v[94:95], -v[214:215]
	v_add_f64 v[22:23], v[22:23], v[84:85]
	v_add_f64 v[18:19], v[18:19], v[22:23]
	v_accvgpr_read_b32 v22, a66
	v_mul_f64 v[88:89], v[200:201], s[24:25]
	v_accvgpr_read_b32 v23, a67
	v_mul_f64 v[108:109], v[194:195], s[18:19]
	v_mul_f64 v[194:195], v[206:207], s[16:17]
	v_add_f64 v[22:23], v[22:23], v[88:89]
	v_accvgpr_read_b32 v89, a57
	v_mul_f64 v[190:191], v[212:213], s[18:19]
	v_add_f64 v[16:17], v[194:195], -v[246:247]
	v_accvgpr_read_b32 v87, a59
	v_accvgpr_read_b32 v88, a56
	v_mul_f64 v[156:157], v[206:207], s[18:19]
	v_add_f64 v[14:15], v[16:17], v[14:15]
	v_add_f64 v[16:17], v[228:229], v[190:191]
	v_accvgpr_read_b32 v85, a63
	v_accvgpr_read_b32 v86, a58
	v_add_f64 v[88:89], v[88:89], v[168:169]
	v_add_f64 v[12:13], v[16:17], v[12:13]
	v_add_f64 v[16:17], v[156:157], -v[220:221]
	v_accvgpr_read_b32 v84, a62
	v_add_f64 v[86:87], v[86:87], v[144:145]
	v_add_f64 v[88:89], v[74:75], v[88:89]
	;; [unrolled: 1-line block ×3, first 2 shown]
	v_accvgpr_read_b32 v18, a70
	v_add_f64 v[84:85], v[84:85], v[108:109]
	v_add_f64 v[86:87], v[86:87], v[88:89]
	v_mul_f64 v[20:21], v[206:207], s[22:23]
	v_mul_f64 v[90:91], v[212:213], s[22:23]
	;; [unrolled: 1-line block ×3, first 2 shown]
	v_accvgpr_read_b32 v19, a71
	v_add_f64 v[84:85], v[84:85], v[86:87]
	v_mul_f64 v[200:201], v[226:227], s[22:23]
	v_add_f64 v[6:7], v[10:11], v[6:7]
	v_add_f64 v[10:11], v[112:113], v[206:207]
	;; [unrolled: 1-line block ×4, first 2 shown]
	v_accvgpr_read_b32 v89, a53
	v_mul_f64 v[110:111], v[230:231], s[6:7]
	v_add_f64 v[10:11], v[10:11], v[8:9]
	v_add_f64 v[8:9], v[200:201], -v[250:251]
	v_add_f64 v[18:19], v[18:19], v[22:23]
	v_accvgpr_read_b32 v22, a68
	v_accvgpr_read_b32 v87, a55
	;; [unrolled: 1-line block ×3, first 2 shown]
	v_mul_f64 v[114:115], v[226:227], s[6:7]
	v_add_f64 v[8:9], v[8:9], v[14:15]
	v_add_f64 v[14:15], v[232:233], v[110:111]
	v_accvgpr_read_b32 v23, a69
	v_accvgpr_read_b32 v85, a61
	v_accvgpr_read_b32 v86, a54
	v_add_f64 v[88:89], v[96:97], -v[88:89]
	v_mul_f64 v[116:117], v[230:231], s[28:29]
	v_add_f64 v[14:15], v[14:15], v[12:13]
	v_add_f64 v[12:13], v[114:115], -v[224:225]
	v_add_f64 v[20:21], v[20:21], -v[22:23]
	v_accvgpr_read_b32 v22, a64
	v_accvgpr_read_b32 v84, a60
	v_add_f64 v[86:87], v[166:167], -v[86:87]
	v_add_f64 v[88:89], v[72:73], v[88:89]
	v_add_f64 v[12:13], v[12:13], v[16:17]
	;; [unrolled: 1-line block ×3, first 2 shown]
	v_accvgpr_read_b32 v23, a65
	v_add_f64 v[84:85], v[122:123], -v[84:85]
	v_add_f64 v[86:87], v[86:87], v[88:89]
	v_add_f64 v[18:19], v[16:17], v[18:19]
	v_accvgpr_read_b32 v16, a72
	v_add_f64 v[22:23], v[92:93], -v[22:23]
	v_add_f64 v[84:85], v[84:85], v[86:87]
	v_mul_f64 v[118:119], v[226:227], s[28:29]
	v_accvgpr_read_b32 v17, a73
	v_add_f64 v[22:23], v[22:23], v[84:85]
	v_add_f64 v[16:17], v[118:119], -v[16:17]
	v_add_f64 v[20:21], v[20:21], v[22:23]
	v_add_f64 v[16:17], v[16:17], v[20:21]
	;; [unrolled: 1-line block ×14, first 2 shown]
	v_accvgpr_read_b32 v20, a28
	v_accvgpr_read_b32 v21, a29
	v_add_f64 v[20:21], v[72:73], v[20:21]
	v_accvgpr_read_b32 v73, a31
	v_accvgpr_read_b32 v72, a30
	v_add_f64 v[20:21], v[20:21], v[72:73]
	;; [unrolled: 3-line block ×12, first 2 shown]
	v_accvgpr_read_b32 v72, a27
	v_mul_u32_u24_e32 v72, 26, v72
	v_accvgpr_read_b32 v73, a26
	v_or_b32_e32 v72, v72, v73
	v_mov_b32_e32 v179, 0
	v_lshlrev_b32_e32 v72, 4, v72
	ds_write_b128 v72, v[20:23]
	ds_write_b128 v72, v[16:19] offset:32
	ds_write_b128 v72, v[12:15] offset:64
	;; [unrolled: 1-line block ×12, first 2 shown]
.LBB0_11:
	s_or_b64 exec, exec, s[20:21]
	s_movk_i32 s6, 0x4f
	v_mul_lo_u16_sdwa v0, v180, s6 dst_sel:DWORD dst_unused:UNUSED_PAD src0_sel:BYTE_0 src1_sel:DWORD
	v_lshrrev_b16_e32 v150, 11, v0
	v_mul_lo_u16_e32 v0, 26, v150
	v_sub_u16_e32 v0, v180, v0
	v_and_b32_e32 v151, 0xff, v0
	s_movk_i32 s33, 0x60
	v_mov_b64_e32 v[108:109], s[0:1]
	v_mad_u64_u32 v[0:1], s[0:1], v151, s33, v[108:109]
	s_waitcnt lgkmcnt(0)
	s_barrier
	global_load_dwordx4 v[88:91], v[0:1], off offset:384
	global_load_dwordx4 v[84:87], v[0:1], off offset:400
	;; [unrolled: 1-line block ×6, first 2 shown]
	ds_read_b128 v[0:3], v176
	ds_read_b128 v[4:7], v176 offset:2912
	ds_read_b128 v[8:11], v176 offset:5824
	;; [unrolled: 1-line block ×6, first 2 shown]
	s_mov_b32 s18, 0xe976ee23
	s_mov_b32 s6, 0x37e14327
	;; [unrolled: 1-line block ×20, first 2 shown]
	s_waitcnt lgkmcnt(0)
	s_barrier
	v_lshlrev_b32_e32 v178, 4, v180
	s_waitcnt vmcnt(5)
	v_mul_f64 v[114:115], v[6:7], v[90:91]
	v_mul_f64 v[116:117], v[4:5], v[90:91]
	s_waitcnt vmcnt(4)
	v_mul_f64 v[118:119], v[10:11], v[86:87]
	s_waitcnt vmcnt(3)
	v_mul_f64 v[122:123], v[14:15], v[78:79]
	v_mul_f64 v[124:125], v[12:13], v[78:79]
	s_waitcnt vmcnt(1)
	v_mul_f64 v[134:135], v[22:23], v[98:99]
	s_waitcnt vmcnt(0)
	v_mul_f64 v[146:147], v[112:113], v[94:95]
	v_mul_f64 v[120:121], v[8:9], v[86:87]
	;; [unrolled: 1-line block ×5, first 2 shown]
	v_fma_f64 v[4:5], v[4:5], v[88:89], -v[114:115]
	v_fmac_f64_e32 v[116:117], v[6:7], v[88:89]
	v_fma_f64 v[6:7], v[8:9], v[84:85], -v[118:119]
	v_fma_f64 v[8:9], v[12:13], v[76:77], -v[122:123]
	v_fmac_f64_e32 v[124:125], v[14:15], v[76:77]
	v_fma_f64 v[12:13], v[20:21], v[96:97], -v[134:135]
	v_fma_f64 v[14:15], v[110:111], v[92:93], -v[146:147]
	v_mul_f64 v[132:133], v[16:17], v[74:75]
	v_fmac_f64_e32 v[120:121], v[10:11], v[84:85]
	v_fma_f64 v[10:11], v[16:17], v[72:73], -v[126:127]
	v_fmac_f64_e32 v[144:145], v[22:23], v[96:97]
	v_fmac_f64_e32 v[148:149], v[112:113], v[92:93]
	v_add_f64 v[16:17], v[4:5], v[14:15]
	v_add_f64 v[20:21], v[6:7], v[12:13]
	v_fmac_f64_e32 v[132:133], v[18:19], v[72:73]
	v_add_f64 v[18:19], v[116:117], v[148:149]
	v_add_f64 v[22:23], v[120:121], v[144:145]
	v_add_f64 v[6:7], v[6:7], -v[12:13]
	v_add_f64 v[110:111], v[8:9], v[10:11]
	v_add_f64 v[8:9], v[10:11], -v[8:9]
	;; [unrolled: 2-line block ×3, first 2 shown]
	v_add_f64 v[14:15], v[116:117], -v[148:149]
	v_add_f64 v[12:13], v[120:121], -v[144:145]
	v_add_f64 v[112:113], v[124:125], v[132:133]
	v_add_f64 v[10:11], v[132:133], -v[124:125]
	v_add_f64 v[116:117], v[22:23], v[18:19]
	v_add_f64 v[118:119], v[20:21], -v[16:17]
	v_add_f64 v[16:17], v[16:17], -v[110:111]
	;; [unrolled: 1-line block ×3, first 2 shown]
	v_add_f64 v[122:123], v[8:9], v[6:7]
	v_add_f64 v[110:111], v[110:111], v[114:115]
	v_add_f64 v[120:121], v[22:23], -v[18:19]
	v_add_f64 v[18:19], v[18:19], -v[112:113]
	;; [unrolled: 1-line block ×7, first 2 shown]
	v_add_f64 v[112:113], v[112:113], v[116:117]
	v_add_f64 v[114:115], v[122:123], v[4:5]
	;; [unrolled: 1-line block ×4, first 2 shown]
	v_mul_f64 v[2:3], v[132:133], s[18:19]
	v_mov_b64_e32 v[132:133], v[4:5]
	v_add_f64 v[124:125], v[10:11], v[12:13]
	v_add_f64 v[12:13], v[12:13], -v[14:15]
	v_mul_f64 v[16:17], v[16:17], s[6:7]
	v_mul_f64 v[18:19], v[18:19], s[6:7]
	;; [unrolled: 1-line block ×5, first 2 shown]
	v_fmac_f64_e32 v[132:133], s[20:21], v[110:111]
	v_mov_b64_e32 v[110:111], v[6:7]
	v_add_f64 v[10:11], v[14:15], -v[10:11]
	v_add_f64 v[14:15], v[124:125], v[14:15]
	v_mul_f64 v[124:125], v[134:135], s[16:17]
	v_mul_f64 v[126:127], v[12:13], s[16:17]
	v_fmac_f64_e32 v[110:111], s[20:21], v[112:113]
	v_fma_f64 v[112:113], v[118:119], s[22:23], -v[116:117]
	v_fma_f64 v[116:117], v[120:121], s[22:23], -v[122:123]
	;; [unrolled: 1-line block ×3, first 2 shown]
	v_fmac_f64_e32 v[16:17], s[0:1], v[20:21]
	v_fma_f64 v[20:21], v[120:121], s[24:25], -v[18:19]
	v_fmac_f64_e32 v[18:19], s[0:1], v[22:23]
	v_fma_f64 v[22:23], v[134:135], s[16:17], -v[0:1]
	;; [unrolled: 2-line block ×4, first 2 shown]
	v_fma_f64 v[124:125], v[10:11], s[30:31], -v[126:127]
	v_add_f64 v[134:135], v[18:19], v[110:111]
	v_add_f64 v[116:117], v[116:117], v[110:111]
	v_fmac_f64_e32 v[0:1], s[28:29], v[114:115]
	v_fmac_f64_e32 v[22:23], s[28:29], v[114:115]
	v_add_f64 v[126:127], v[16:17], v[132:133]
	v_add_f64 v[112:113], v[112:113], v[132:133]
	;; [unrolled: 1-line block ×4, first 2 shown]
	v_fmac_f64_e32 v[2:3], s[28:29], v[14:15]
	v_fmac_f64_e32 v[120:121], s[28:29], v[14:15]
	v_fmac_f64_e32 v[122:123], s[28:29], v[114:115]
	v_fmac_f64_e32 v[124:125], s[28:29], v[14:15]
	v_add_f64 v[10:11], v[134:135], -v[0:1]
	v_add_f64 v[18:19], v[22:23], v[116:117]
	v_add_f64 v[22:23], v[116:117], -v[22:23]
	v_add_f64 v[116:117], v[0:1], v[134:135]
	v_mul_u32_u24_e32 v0, 0xb6, v150
	v_add_f64 v[8:9], v[2:3], v[126:127]
	v_add_f64 v[16:17], v[112:113], -v[120:121]
	v_add_f64 v[20:21], v[120:121], v[112:113]
	v_add_f64 v[110:111], v[118:119], -v[124:125]
	;; [unrolled: 2-line block ×3, first 2 shown]
	v_add_lshl_u32 v0, v0, v151, 4
	v_mad_u64_u32 v[2:3], s[34:35], v180, s33, v[108:109]
	v_add_f64 v[12:13], v[124:125], v[118:119]
	v_add_f64 v[14:15], v[132:133], -v[122:123]
	ds_write_b128 v0, v[4:7]
	ds_write_b128 v0, v[8:11] offset:416
	ds_write_b128 v0, v[12:15] offset:832
	;; [unrolled: 1-line block ×6, first 2 shown]
	s_waitcnt lgkmcnt(0)
	s_barrier
	global_load_dwordx4 v[120:123], v[2:3], off offset:2880
	global_load_dwordx4 v[116:119], v[2:3], off offset:2896
	;; [unrolled: 1-line block ×6, first 2 shown]
	ds_read_b128 v[2:5], v176
	ds_read_b128 v[6:9], v176 offset:2912
	ds_read_b128 v[10:13], v176 offset:5824
	;; [unrolled: 1-line block ×6, first 2 shown]
	v_lshl_add_u64 v[144:145], s[14:15], 0, v[178:179]
	s_waitcnt vmcnt(5) lgkmcnt(5)
	v_mul_f64 v[22:23], v[8:9], v[122:123]
	v_fma_f64 v[22:23], v[6:7], v[120:121], -v[22:23]
	v_mul_f64 v[6:7], v[6:7], v[122:123]
	v_fmac_f64_e32 v[6:7], v[8:9], v[120:121]
	s_waitcnt vmcnt(4) lgkmcnt(4)
	v_mul_f64 v[8:9], v[12:13], v[118:119]
	v_fma_f64 v[8:9], v[10:11], v[116:117], -v[8:9]
	v_mul_f64 v[10:11], v[10:11], v[118:119]
	v_fmac_f64_e32 v[10:11], v[12:13], v[116:117]
	;; [unrolled: 5-line block ×6, first 2 shown]
	v_add_f64 v[152:153], v[22:23], v[148:149]
	v_add_f64 v[22:23], v[22:23], -v[148:149]
	v_add_f64 v[148:149], v[8:9], v[20:21]
	v_add_f64 v[154:155], v[6:7], v[150:151]
	v_add_f64 v[6:7], v[6:7], -v[150:151]
	v_add_f64 v[150:151], v[10:11], v[146:147]
	v_add_f64 v[8:9], v[8:9], -v[20:21]
	;; [unrolled: 2-line block ×5, first 2 shown]
	v_add_f64 v[18:19], v[150:151], v[154:155]
	v_add_f64 v[16:17], v[20:21], v[16:17]
	;; [unrolled: 1-line block ×4, first 2 shown]
	v_add_f64 v[156:157], v[148:149], -v[152:153]
	v_add_f64 v[158:159], v[150:151], -v[154:155]
	;; [unrolled: 1-line block ×6, first 2 shown]
	v_add_f64 v[160:161], v[12:13], v[8:9]
	v_add_f64 v[162:163], v[14:15], v[10:11]
	v_add_f64 v[164:165], v[12:13], -v[8:9]
	v_add_f64 v[166:167], v[14:15], -v[10:11]
	;; [unrolled: 1-line block ×4, first 2 shown]
	v_add_f64 v[4:5], v[4:5], v[18:19]
	v_mov_b64_e32 v[168:169], v[2:3]
	v_add_f64 v[12:13], v[22:23], -v[12:13]
	v_add_f64 v[14:15], v[6:7], -v[14:15]
	v_add_f64 v[20:21], v[160:161], v[22:23]
	v_add_f64 v[6:7], v[162:163], v[6:7]
	v_mul_f64 v[22:23], v[152:153], s[6:7]
	v_mul_f64 v[146:147], v[154:155], s[6:7]
	;; [unrolled: 1-line block ×8, first 2 shown]
	v_fmac_f64_e32 v[168:169], s[20:21], v[16:17]
	v_mov_b64_e32 v[16:17], v[4:5]
	v_fmac_f64_e32 v[16:17], s[20:21], v[18:19]
	v_fma_f64 v[18:19], s[0:1], v[148:149], v[22:23]
	v_fma_f64 v[148:149], v[156:157], s[22:23], -v[152:153]
	v_fma_f64 v[152:153], v[158:159], s[22:23], -v[154:155]
	;; [unrolled: 1-line block ×4, first 2 shown]
	v_fmac_f64_e32 v[146:147], s[0:1], v[150:151]
	v_fma_f64 v[150:151], s[26:27], v[12:13], v[160:161]
	v_fma_f64 v[156:157], v[8:9], s[16:17], -v[160:161]
	v_fma_f64 v[158:159], v[10:11], s[16:17], -v[162:163]
	v_fmac_f64_e32 v[162:163], s[26:27], v[14:15]
	v_fma_f64 v[160:161], v[12:13], s[30:31], -v[164:165]
	v_fma_f64 v[164:165], v[14:15], s[30:31], -v[166:167]
	v_add_f64 v[166:167], v[18:19], v[168:169]
	v_add_f64 v[146:147], v[146:147], v[16:17]
	v_add_f64 v[18:19], v[148:149], v[168:169]
	v_add_f64 v[148:149], v[152:153], v[16:17]
	v_add_f64 v[22:23], v[22:23], v[168:169]
	v_add_f64 v[154:155], v[154:155], v[16:17]
	v_fmac_f64_e32 v[150:151], s[28:29], v[20:21]
	v_fmac_f64_e32 v[162:163], s[28:29], v[6:7]
	v_fmac_f64_e32 v[156:157], s[28:29], v[20:21]
	v_fmac_f64_e32 v[158:159], s[28:29], v[6:7]
	v_fmac_f64_e32 v[160:161], s[28:29], v[20:21]
	v_fmac_f64_e32 v[164:165], s[28:29], v[6:7]
	s_movk_i32 s6, 0x4000
	v_add_f64 v[6:7], v[162:163], v[166:167]
	v_add_f64 v[8:9], v[146:147], -v[150:151]
	v_add_f64 v[10:11], v[164:165], v[22:23]
	v_add_f64 v[12:13], v[154:155], -v[160:161]
	v_add_f64 v[14:15], v[18:19], -v[158:159]
	v_add_f64 v[16:17], v[156:157], v[148:149]
	v_add_f64 v[18:19], v[158:159], v[18:19]
	v_add_f64 v[20:21], v[148:149], -v[156:157]
	v_add_f64 v[152:153], v[22:23], -v[164:165]
	v_add_f64 v[154:155], v[160:161], v[154:155]
	v_add_f64 v[148:149], v[166:167], -v[162:163]
	v_add_f64 v[150:151], v[150:151], v[146:147]
	ds_write_b128 v176, v[2:5]
	ds_write_b128 v176, v[6:9] offset:2912
	ds_write_b128 v176, v[10:13] offset:5824
	;; [unrolled: 1-line block ×6, first 2 shown]
	v_add_co_u32_e32 v2, vcc, s6, v144
	s_movk_i32 s0, 0x7000
	s_nop 0
	v_addc_co_u32_e32 v3, vcc, 0, v145, vcc
	v_add_co_u32_e32 v6, vcc, s0, v144
	s_waitcnt lgkmcnt(0)
	s_barrier
	global_load_dwordx4 v[2:5], v[2:3], off offset:4000
	v_addc_co_u32_e32 v7, vcc, 0, v145, vcc
	global_load_dwordx4 v[6:9], v[6:7], off offset:1904
	s_mov_b64 s[0:1], 0x4fa0
	v_lshl_add_u64 v[146:147], v[144:145], 0, s[0:1]
	global_load_dwordx4 v[10:13], v[146:147], off offset:2912
	s_mov_b32 s0, 0x8000
	v_add_co_u32_e32 v22, vcc, s0, v144
	s_movk_i32 s0, 0x6000
	s_nop 0
	v_addc_co_u32_e32 v23, vcc, 0, v145, vcc
	global_load_dwordx4 v[14:17], v[22:23], off offset:720
	v_add_co_u32_e32 v18, vcc, s0, v144
	s_nop 1
	v_addc_co_u32_e32 v19, vcc, 0, v145, vcc
	global_load_dwordx4 v[18:21], v[18:19], off offset:1632
	s_nop 0
	global_load_dwordx4 v[152:155], v[22:23], off offset:3632
	ds_read_b128 v[156:159], v176
	ds_read_b128 v[160:163], v176 offset:2912
	ds_read_b128 v[168:171], v176 offset:10192
	s_waitcnt vmcnt(5) lgkmcnt(2)
	v_mul_f64 v[22:23], v[158:159], v[4:5]
	v_mul_f64 v[166:167], v[156:157], v[4:5]
	v_fma_f64 v[164:165], v[156:157], v[2:3], -v[22:23]
	v_fmac_f64_e32 v[166:167], v[158:159], v[2:3]
	ds_read_b128 v[2:5], v176 offset:5824
	s_waitcnt vmcnt(4) lgkmcnt(1)
	v_mul_f64 v[22:23], v[170:171], v[8:9]
	v_mul_f64 v[158:159], v[168:169], v[8:9]
	v_fma_f64 v[156:157], v[168:169], v[6:7], -v[22:23]
	v_fmac_f64_e32 v[158:159], v[170:171], v[6:7]
	ds_write_b128 v176, v[156:159] offset:10192
	ds_read_b128 v[156:159], v176 offset:13104
	s_waitcnt vmcnt(3)
	v_mul_f64 v[6:7], v[162:163], v[12:13]
	v_mul_f64 v[8:9], v[160:161], v[12:13]
	v_fma_f64 v[6:7], v[160:161], v[10:11], -v[6:7]
	v_fmac_f64_e32 v[8:9], v[162:163], v[10:11]
	ds_write_b128 v176, v[6:9] offset:2912
	ds_read_b128 v[6:9], v176 offset:16016
	s_waitcnt vmcnt(2) lgkmcnt(2)
	v_mul_f64 v[10:11], v[158:159], v[16:17]
	v_mul_f64 v[12:13], v[156:157], v[16:17]
	v_fma_f64 v[10:11], v[156:157], v[14:15], -v[10:11]
	v_fmac_f64_e32 v[12:13], v[158:159], v[14:15]
	ds_write_b128 v176, v[10:13] offset:13104
	s_waitcnt vmcnt(1)
	v_mul_f64 v[10:11], v[4:5], v[20:21]
	v_mul_f64 v[12:13], v[2:3], v[20:21]
	v_fma_f64 v[10:11], v[2:3], v[18:19], -v[10:11]
	v_fmac_f64_e32 v[12:13], v[4:5], v[18:19]
	s_waitcnt vmcnt(0) lgkmcnt(1)
	v_mul_f64 v[2:3], v[8:9], v[154:155]
	v_mul_f64 v[4:5], v[6:7], v[154:155]
	v_fma_f64 v[2:3], v[6:7], v[152:153], -v[2:3]
	v_fmac_f64_e32 v[4:5], v[8:9], v[152:153]
	ds_write_b128 v176, v[164:167]
	ds_write_b128 v176, v[10:13] offset:5824
	ds_write_b128 v176, v[2:5] offset:16016
	s_and_saveexec_b64 s[0:1], s[4:5]
	s_cbranch_execz .LBB0_13
; %bb.12:
	v_add_co_u32_e32 v2, vcc, 0x2000, v146
	s_nop 1
	v_addc_co_u32_e32 v3, vcc, 0, v147, vcc
	v_add_co_u32_e32 v6, vcc, s6, v146
	global_load_dwordx4 v[2:5], v[2:3], off offset:544
	s_nop 0
	v_addc_co_u32_e32 v7, vcc, 0, v147, vcc
	global_load_dwordx4 v[6:9], v[6:7], off offset:2544
	ds_read_b128 v[10:13], v176 offset:8736
	ds_read_b128 v[14:17], v176 offset:18928
	s_waitcnt vmcnt(1) lgkmcnt(1)
	v_mul_f64 v[18:19], v[12:13], v[4:5]
	v_mul_f64 v[20:21], v[10:11], v[4:5]
	v_fma_f64 v[18:19], v[10:11], v[2:3], -v[18:19]
	s_waitcnt vmcnt(0) lgkmcnt(0)
	v_mul_f64 v[22:23], v[16:17], v[8:9]
	v_mul_f64 v[4:5], v[14:15], v[8:9]
	v_fmac_f64_e32 v[20:21], v[12:13], v[2:3]
	v_fma_f64 v[2:3], v[14:15], v[6:7], -v[22:23]
	v_fmac_f64_e32 v[4:5], v[16:17], v[6:7]
	ds_write_b128 v176, v[18:21] offset:8736
	ds_write_b128 v176, v[2:5] offset:18928
.LBB0_13:
	s_or_b64 exec, exec, s[0:1]
	s_waitcnt lgkmcnt(0)
	s_barrier
	ds_read_b128 v[144:147], v176
	ds_read_b128 v[156:159], v176 offset:2912
	ds_read_b128 v[152:155], v176 offset:10192
	;; [unrolled: 1-line block ×5, first 2 shown]
	v_add_u32_e32 v2, 0x16c0, v177
	v_add_u32_e32 v1, 0x2d80, v177
	s_and_saveexec_b64 s[0:1], s[4:5]
	s_cbranch_execz .LBB0_15
; %bb.14:
	ds_read_b128 v[148:151], v176 offset:8736
	ds_read_b128 v[140:143], v176 offset:18928
.LBB0_15:
	s_or_b64 exec, exec, s[0:1]
	s_waitcnt lgkmcnt(3)
	v_add_f64 v[152:153], v[144:145], -v[152:153]
	v_add_f64 v[154:155], v[146:147], -v[154:155]
	s_waitcnt lgkmcnt(1)
	v_add_f64 v[160:161], v[156:157], -v[160:161]
	v_add_f64 v[162:163], v[158:159], -v[162:163]
	;; [unrolled: 3-line block ×3, first 2 shown]
	v_add_f64 v[172:173], v[148:149], -v[140:141]
	v_add_f64 v[174:175], v[150:151], -v[142:143]
	v_fma_f64 v[144:145], v[144:145], 2.0, -v[152:153]
	v_fma_f64 v[146:147], v[146:147], 2.0, -v[154:155]
	;; [unrolled: 1-line block ×8, first 2 shown]
	s_barrier
	ds_write_b128 v183, v[144:147]
	ds_write_b128 v183, v[152:155] offset:16
	ds_write_b128 v2, v[156:159]
	ds_write_b128 v2, v[160:163] offset:16
	;; [unrolled: 2-line block ×3, first 2 shown]
	s_and_saveexec_b64 s[0:1], s[4:5]
	s_cbranch_execz .LBB0_17
; %bb.16:
	ds_write_b128 v181, v[140:143]
	ds_write_b128 v181, v[172:175] offset:16
.LBB0_17:
	s_or_b64 exec, exec, s[0:1]
	s_waitcnt lgkmcnt(0)
	s_barrier
	s_and_saveexec_b64 s[0:1], s[2:3]
	s_cbranch_execz .LBB0_19
; %bb.18:
	ds_read_b128 v[144:147], v176
	ds_read_b128 v[152:155], v176 offset:1568
	ds_read_b128 v[156:159], v176 offset:3136
	;; [unrolled: 1-line block ×12, first 2 shown]
.LBB0_19:
	s_or_b64 exec, exec, s[0:1]
	s_waitcnt lgkmcnt(0)
	s_barrier
	s_and_saveexec_b64 s[0:1], s[2:3]
	s_cbranch_execz .LBB0_21
; %bb.20:
	v_mul_f64 v[148:149], v[54:55], v[142:143]
	v_mul_f64 v[4:5], v[54:55], v[140:141]
	;; [unrolled: 1-line block ×3, first 2 shown]
	v_fmac_f64_e32 v[148:149], v[52:53], v[140:141]
	v_fma_f64 v[140:141], v[52:53], v[142:143], -v[4:5]
	v_mul_f64 v[52:53], v[42:43], v[170:171]
	v_fma_f64 v[170:171], v[40:41], v[170:171], -v[8:9]
	v_mul_f64 v[8:9], v[46:47], v[136:137]
	v_fmac_f64_e32 v[52:53], v[40:41], v[168:169]
	v_mul_f64 v[54:55], v[46:47], v[138:139]
	v_fma_f64 v[168:169], v[44:45], v[138:139], -v[8:9]
	v_mul_f64 v[138:139], v[38:39], v[166:167]
	v_mul_f64 v[12:13], v[38:39], v[164:165]
	v_fmac_f64_e32 v[54:55], v[44:45], v[136:137]
	v_fmac_f64_e32 v[138:139], v[36:37], v[164:165]
	v_mul_f64 v[136:137], v[66:67], v[130:131]
	v_fma_f64 v[164:165], v[36:37], v[166:167], -v[12:13]
	v_mul_f64 v[12:13], v[66:67], v[128:129]
	v_mul_f64 v[16:17], v[34:35], v[160:161]
	v_fmac_f64_e32 v[136:137], v[64:65], v[128:129]
	v_fma_f64 v[66:67], v[64:65], v[130:131], -v[12:13]
	v_mul_f64 v[64:65], v[70:71], v[106:107]
	v_fma_f64 v[130:131], v[32:33], v[162:163], -v[16:17]
	v_mul_f64 v[16:17], v[70:71], v[104:105]
	v_mul_f64 v[20:21], v[30:31], v[156:157]
	v_fmac_f64_e32 v[64:65], v[68:69], v[104:105]
	v_fma_f64 v[70:71], v[68:69], v[106:107], -v[16:17]
	v_mul_f64 v[68:69], v[62:63], v[102:103]
	v_fma_f64 v[106:107], v[28:29], v[158:159], -v[20:21]
	v_mul_f64 v[20:21], v[62:63], v[100:101]
	v_fmac_f64_e32 v[68:69], v[60:61], v[100:101]
	v_fma_f64 v[62:63], v[60:61], v[102:103], -v[20:21]
	v_mul_f64 v[100:101], v[26:27], v[154:155]
	v_mul_f64 v[60:61], v[58:59], v[82:83]
	;; [unrolled: 1-line block ×4, first 2 shown]
	v_fmac_f64_e32 v[100:101], v[24:25], v[152:153]
	v_fmac_f64_e32 v[60:61], v[56:57], v[80:81]
	s_mov_b32 s30, 0x4bc48dbf
	v_fma_f64 v[102:103], v[24:25], v[154:155], -v[26:27]
	v_mul_f64 v[24:25], v[58:59], v[80:81]
	v_mul_f64 v[128:129], v[34:35], v[162:163]
	v_fmac_f64_e32 v[104:105], v[28:29], v[156:157]
	v_add_f64 v[194:195], v[100:101], -v[60:61]
	s_mov_b32 s31, 0xbfcea1e5
	v_fma_f64 v[56:57], v[56:57], v[82:83], -v[24:25]
	s_mov_b32 s28, 0x93053d00
	v_fmac_f64_e32 v[128:129], v[32:33], v[160:161]
	s_mov_b32 s22, 0x24c2f84
	v_add_f64 v[162:163], v[104:105], -v[68:69]
	s_mov_b32 s27, 0x3fddbe06
	s_mov_b32 s26, 0x4267c47c
	;; [unrolled: 1-line block ×3, first 2 shown]
	v_mul_f64 v[22:23], v[194:195], s[30:31]
	v_add_f64 v[58:59], v[102:103], v[56:57]
	s_mov_b32 s29, 0xbfef11f4
	s_mov_b32 s36, 0x42a4c3d2
	v_add_f64 v[190:191], v[128:129], -v[64:65]
	s_mov_b32 s23, 0xbfe5384d
	s_mov_b32 s18, 0xd0032e0c
	v_mul_f64 v[18:19], v[162:163], s[26:27]
	v_add_f64 v[156:157], v[106:107], v[62:63]
	s_mov_b32 s21, 0x3fec55a7
	v_fma_f64 v[24:25], s[28:29], v[58:59], v[22:23]
	v_add_f64 v[206:207], v[102:103], -v[56:57]
	v_mul_f64 v[150:151], v[50:51], v[174:175]
	s_mov_b32 s16, 0x2ef20147
	v_add_f64 v[188:189], v[138:139], -v[136:137]
	s_mov_b32 s37, 0x3fea55e2
	s_mov_b32 s14, 0x1ea71119
	v_mul_f64 v[14:15], v[190:191], s[22:23]
	v_add_f64 v[160:161], v[130:131], v[70:71]
	s_mov_b32 s19, 0xbfe7f3cc
	v_fma_f64 v[20:21], s[20:21], v[156:157], v[18:19]
	v_add_f64 v[24:25], v[146:147], v[24:25]
	v_add_f64 v[204:205], v[106:107], -v[62:63]
	v_add_f64 v[192:193], v[100:101], v[60:61]
	v_mul_f64 v[36:37], v[206:207], s[30:31]
	v_fmac_f64_e32 v[150:151], v[48:49], v[172:173]
	s_mov_b32 s24, 0x66966769
	v_mul_f64 v[4:5], v[50:51], v[172:173]
	v_add_f64 v[186:187], v[52:53], -v[54:55]
	s_mov_b32 s17, 0xbfedeba7
	s_mov_b32 s6, 0xb2365da1
	v_mul_f64 v[10:11], v[188:189], s[36:37]
	v_add_f64 v[166:167], v[164:165], v[66:67]
	s_mov_b32 s15, 0x3fe22d96
	v_fma_f64 v[16:17], s[18:19], v[160:161], v[14:15]
	v_add_f64 v[20:21], v[20:21], v[24:25]
	v_add_f64 v[202:203], v[130:131], -v[70:71]
	v_add_f64 v[158:159], v[104:105], v[68:69]
	v_mul_f64 v[32:33], v[204:205], s[26:27]
	v_fma_f64 v[38:39], v[192:193], s[28:29], -v[36:37]
	v_add_f64 v[184:185], v[148:149], -v[150:151]
	s_mov_b32 s25, 0x3fefc445
	v_fma_f64 v[142:143], v[48:49], v[174:175], -v[4:5]
	s_mov_b32 s2, 0xebaa3ed8
	v_mul_f64 v[6:7], v[186:187], s[16:17]
	v_add_f64 v[174:175], v[170:171], v[168:169]
	s_mov_b32 s7, 0xbfd6b1d8
	v_fma_f64 v[12:13], s[14:15], v[166:167], v[10:11]
	v_add_f64 v[16:17], v[16:17], v[20:21]
	v_add_f64 v[200:201], v[164:165], -v[66:67]
	v_add_f64 v[154:155], v[128:129], v[64:65]
	v_mul_f64 v[28:29], v[202:203], s[22:23]
	v_fma_f64 v[34:35], v[158:159], s[20:21], -v[32:33]
	v_add_f64 v[38:39], v[144:145], v[38:39]
	v_mul_f64 v[2:3], v[184:185], s[24:25]
	v_add_f64 v[172:173], v[140:141], v[142:143]
	s_mov_b32 s3, 0x3fbedb7d
	v_fma_f64 v[8:9], s[6:7], v[174:175], v[6:7]
	v_add_f64 v[12:13], v[12:13], v[16:17]
	v_add_f64 v[198:199], v[170:171], -v[168:169]
	v_add_f64 v[152:153], v[138:139], v[136:137]
	v_mul_f64 v[20:21], v[200:201], s[36:37]
	v_fma_f64 v[30:31], v[154:155], s[18:19], -v[28:29]
	v_add_f64 v[34:35], v[34:35], v[38:39]
	v_fma_f64 v[4:5], s[2:3], v[172:173], v[2:3]
	v_add_f64 v[8:9], v[8:9], v[12:13]
	v_add_f64 v[196:197], v[140:141], -v[142:143]
	v_add_f64 v[82:83], v[52:53], v[54:55]
	v_mul_f64 v[12:13], v[198:199], s[16:17]
	v_fma_f64 v[24:25], v[152:153], s[14:15], -v[20:21]
	v_add_f64 v[30:31], v[30:31], v[34:35]
	v_add_f64 v[26:27], v[4:5], v[8:9]
	v_add_f64 v[80:81], v[148:149], v[150:151]
	v_mul_f64 v[4:5], v[196:197], s[24:25]
	v_fma_f64 v[16:17], v[82:83], s[6:7], -v[12:13]
	v_add_f64 v[24:25], v[24:25], v[30:31]
	v_fma_f64 v[8:9], v[80:81], s[2:3], -v[4:5]
	v_add_f64 v[16:17], v[16:17], v[24:25]
	v_add_f64 v[24:25], v[8:9], v[16:17]
	v_fma_f64 v[16:17], v[58:59], s[28:29], -v[22:23]
	v_fma_f64 v[8:9], v[166:167], s[14:15], -v[10:11]
	;; [unrolled: 1-line block ×4, first 2 shown]
	v_add_f64 v[16:17], v[146:147], v[16:17]
	v_add_f64 v[14:15], v[14:15], v[16:17]
	;; [unrolled: 1-line block ×3, first 2 shown]
	v_fma_f64 v[6:7], v[174:175], s[6:7], -v[6:7]
	v_add_f64 v[8:9], v[8:9], v[10:11]
	v_fma_f64 v[2:3], v[172:173], s[2:3], -v[2:3]
	v_add_f64 v[6:7], v[6:7], v[8:9]
	v_fmac_f64_e32 v[36:37], s[28:29], v[192:193]
	v_add_f64 v[30:31], v[2:3], v[6:7]
	v_fmac_f64_e32 v[32:33], s[20:21], v[158:159]
	;; [unrolled: 2-line block ×3, first 2 shown]
	v_add_f64 v[2:3], v[32:33], v[2:3]
	v_mul_f64 v[22:23], v[194:195], s[22:23]
	v_fmac_f64_e32 v[20:21], s[14:15], v[152:153]
	v_add_f64 v[2:3], v[28:29], v[2:3]
	s_mov_b32 s35, 0xbfea55e2
	s_mov_b32 s34, s36
	v_mul_f64 v[18:19], v[162:163], s[24:25]
	v_fma_f64 v[32:33], s[18:19], v[58:59], v[22:23]
	v_add_f64 v[2:3], v[20:21], v[2:3]
	s_mov_b32 s43, 0x3fcea1e5
	s_mov_b32 s42, s30
	v_mul_f64 v[14:15], v[190:191], s[34:35]
	v_fma_f64 v[20:21], s[2:3], v[156:157], v[18:19]
	v_add_f64 v[32:33], v[146:147], v[32:33]
	v_mul_f64 v[44:45], v[206:207], s[22:23]
	v_fmac_f64_e32 v[12:13], s[6:7], v[82:83]
	v_mul_f64 v[10:11], v[188:189], s[42:43]
	v_fma_f64 v[16:17], s[14:15], v[160:161], v[14:15]
	v_add_f64 v[20:21], v[20:21], v[32:33]
	v_mul_f64 v[40:41], v[204:205], s[24:25]
	v_fma_f64 v[46:47], v[192:193], s[18:19], -v[44:45]
	v_fmac_f64_e32 v[4:5], s[2:3], v[80:81]
	v_add_f64 v[2:3], v[12:13], v[2:3]
	v_mul_f64 v[6:7], v[186:187], s[26:27]
	v_fma_f64 v[12:13], s[28:29], v[166:167], v[10:11]
	v_add_f64 v[16:17], v[16:17], v[20:21]
	v_mul_f64 v[36:37], v[202:203], s[34:35]
	v_fma_f64 v[42:43], v[158:159], s[2:3], -v[40:41]
	v_add_f64 v[46:47], v[144:145], v[46:47]
	v_add_f64 v[28:29], v[4:5], v[2:3]
	v_mul_f64 v[2:3], v[184:185], s[16:17]
	v_fma_f64 v[8:9], s[20:21], v[174:175], v[6:7]
	v_add_f64 v[12:13], v[12:13], v[16:17]
	v_mul_f64 v[20:21], v[200:201], s[42:43]
	v_fma_f64 v[38:39], v[154:155], s[14:15], -v[36:37]
	v_add_f64 v[42:43], v[42:43], v[46:47]
	v_fma_f64 v[4:5], s[6:7], v[172:173], v[2:3]
	v_add_f64 v[8:9], v[8:9], v[12:13]
	v_mul_f64 v[12:13], v[198:199], s[26:27]
	v_fma_f64 v[32:33], v[152:153], s[28:29], -v[20:21]
	v_add_f64 v[38:39], v[38:39], v[42:43]
	v_add_f64 v[34:35], v[4:5], v[8:9]
	v_mul_f64 v[4:5], v[196:197], s[16:17]
	v_fma_f64 v[16:17], v[82:83], s[20:21], -v[12:13]
	v_add_f64 v[32:33], v[32:33], v[38:39]
	v_fma_f64 v[8:9], v[80:81], s[6:7], -v[4:5]
	v_add_f64 v[16:17], v[16:17], v[32:33]
	v_add_f64 v[32:33], v[8:9], v[16:17]
	v_fma_f64 v[16:17], v[58:59], s[18:19], -v[22:23]
	v_fma_f64 v[8:9], v[166:167], s[28:29], -v[10:11]
	;; [unrolled: 1-line block ×4, first 2 shown]
	v_add_f64 v[16:17], v[146:147], v[16:17]
	v_add_f64 v[14:15], v[14:15], v[16:17]
	;; [unrolled: 1-line block ×3, first 2 shown]
	v_fma_f64 v[6:7], v[174:175], s[20:21], -v[6:7]
	v_add_f64 v[8:9], v[8:9], v[10:11]
	v_fma_f64 v[2:3], v[172:173], s[6:7], -v[2:3]
	v_add_f64 v[6:7], v[6:7], v[8:9]
	v_fmac_f64_e32 v[44:45], s[18:19], v[192:193]
	v_add_f64 v[38:39], v[2:3], v[6:7]
	v_fmac_f64_e32 v[40:41], s[2:3], v[158:159]
	;; [unrolled: 2-line block ×3, first 2 shown]
	v_add_f64 v[2:3], v[40:41], v[2:3]
	s_mov_b32 s41, 0x3fe5384d
	s_mov_b32 s40, s22
	v_mul_f64 v[22:23], v[194:195], s[16:17]
	v_fmac_f64_e32 v[20:21], s[28:29], v[152:153]
	v_add_f64 v[2:3], v[36:37], v[2:3]
	v_mul_f64 v[18:19], v[162:163], s[40:41]
	v_fma_f64 v[40:41], s[6:7], v[58:59], v[22:23]
	v_add_f64 v[2:3], v[20:21], v[2:3]
	s_mov_b32 s39, 0xbfefc445
	s_mov_b32 s38, s24
	v_mul_f64 v[14:15], v[190:191], s[26:27]
	v_fma_f64 v[20:21], s[18:19], v[156:157], v[18:19]
	v_add_f64 v[40:41], v[146:147], v[40:41]
	v_mul_f64 v[178:179], v[206:207], s[16:17]
	v_fmac_f64_e32 v[12:13], s[20:21], v[82:83]
	v_mul_f64 v[10:11], v[188:189], s[38:39]
	v_fma_f64 v[16:17], s[20:21], v[160:161], v[14:15]
	v_add_f64 v[20:21], v[20:21], v[40:41]
	v_mul_f64 v[48:49], v[204:205], s[40:41]
	v_fma_f64 v[208:209], v[192:193], s[6:7], -v[178:179]
	v_fmac_f64_e32 v[4:5], s[6:7], v[80:81]
	v_add_f64 v[2:3], v[12:13], v[2:3]
	v_mul_f64 v[6:7], v[186:187], s[42:43]
	v_fma_f64 v[12:13], s[2:3], v[166:167], v[10:11]
	v_add_f64 v[16:17], v[16:17], v[20:21]
	v_mul_f64 v[44:45], v[202:203], s[26:27]
	v_fma_f64 v[50:51], v[158:159], s[18:19], -v[48:49]
	v_add_f64 v[208:209], v[144:145], v[208:209]
	v_add_f64 v[36:37], v[4:5], v[2:3]
	v_mul_f64 v[2:3], v[184:185], s[36:37]
	v_fma_f64 v[8:9], s[28:29], v[174:175], v[6:7]
	v_add_f64 v[12:13], v[12:13], v[16:17]
	v_mul_f64 v[20:21], v[200:201], s[38:39]
	v_fma_f64 v[46:47], v[154:155], s[20:21], -v[44:45]
	v_add_f64 v[50:51], v[50:51], v[208:209]
	v_fma_f64 v[4:5], s[14:15], v[172:173], v[2:3]
	v_add_f64 v[8:9], v[8:9], v[12:13]
	v_mul_f64 v[12:13], v[198:199], s[42:43]
	v_fma_f64 v[40:41], v[152:153], s[2:3], -v[20:21]
	v_add_f64 v[46:47], v[46:47], v[50:51]
	v_add_f64 v[42:43], v[4:5], v[8:9]
	v_mul_f64 v[4:5], v[196:197], s[36:37]
	v_fma_f64 v[16:17], v[82:83], s[28:29], -v[12:13]
	v_add_f64 v[40:41], v[40:41], v[46:47]
	v_fma_f64 v[8:9], v[80:81], s[14:15], -v[4:5]
	v_add_f64 v[16:17], v[16:17], v[40:41]
	v_add_f64 v[40:41], v[8:9], v[16:17]
	v_fma_f64 v[16:17], v[58:59], s[6:7], -v[22:23]
	v_fma_f64 v[8:9], v[166:167], s[2:3], -v[10:11]
	;; [unrolled: 1-line block ×4, first 2 shown]
	v_add_f64 v[16:17], v[146:147], v[16:17]
	v_add_f64 v[14:15], v[14:15], v[16:17]
	;; [unrolled: 1-line block ×3, first 2 shown]
	v_fma_f64 v[6:7], v[174:175], s[28:29], -v[6:7]
	v_add_f64 v[8:9], v[8:9], v[10:11]
	v_fma_f64 v[2:3], v[172:173], s[14:15], -v[2:3]
	v_add_f64 v[6:7], v[6:7], v[8:9]
	v_fmac_f64_e32 v[178:179], s[6:7], v[192:193]
	v_add_f64 v[46:47], v[2:3], v[6:7]
	v_fmac_f64_e32 v[48:49], s[18:19], v[158:159]
	;; [unrolled: 2-line block ×3, first 2 shown]
	v_add_f64 v[2:3], v[48:49], v[2:3]
	v_mul_f64 v[22:23], v[194:195], s[38:39]
	v_fmac_f64_e32 v[20:21], s[2:3], v[152:153]
	v_add_f64 v[2:3], v[44:45], v[2:3]
	s_mov_b32 s37, 0x3fedeba7
	s_mov_b32 s36, s16
	v_mul_f64 v[18:19], v[162:163], s[30:31]
	v_fma_f64 v[48:49], s[2:3], v[58:59], v[22:23]
	v_add_f64 v[2:3], v[20:21], v[2:3]
	v_mul_f64 v[14:15], v[190:191], s[36:37]
	v_fma_f64 v[20:21], s[28:29], v[156:157], v[18:19]
	v_add_f64 v[48:49], v[146:147], v[48:49]
	v_mul_f64 v[214:215], v[206:207], s[38:39]
	v_fmac_f64_e32 v[12:13], s[28:29], v[82:83]
	v_mul_f64 v[10:11], v[188:189], s[26:27]
	v_fma_f64 v[16:17], s[6:7], v[160:161], v[14:15]
	v_add_f64 v[20:21], v[20:21], v[48:49]
	v_mul_f64 v[210:211], v[204:205], s[30:31]
	v_fma_f64 v[216:217], v[192:193], s[2:3], -v[214:215]
	v_fmac_f64_e32 v[4:5], s[14:15], v[80:81]
	v_add_f64 v[2:3], v[12:13], v[2:3]
	v_mul_f64 v[6:7], v[186:187], s[34:35]
	v_fma_f64 v[12:13], s[20:21], v[166:167], v[10:11]
	v_add_f64 v[16:17], v[16:17], v[20:21]
	v_mul_f64 v[178:179], v[202:203], s[36:37]
	v_fma_f64 v[212:213], v[158:159], s[28:29], -v[210:211]
	v_add_f64 v[216:217], v[144:145], v[216:217]
	v_add_f64 v[44:45], v[4:5], v[2:3]
	v_mul_f64 v[2:3], v[184:185], s[22:23]
	v_fma_f64 v[8:9], s[14:15], v[174:175], v[6:7]
	v_add_f64 v[12:13], v[12:13], v[16:17]
	v_mul_f64 v[20:21], v[200:201], s[26:27]
	v_fma_f64 v[208:209], v[154:155], s[6:7], -v[178:179]
	v_add_f64 v[212:213], v[212:213], v[216:217]
	v_fma_f64 v[4:5], s[18:19], v[172:173], v[2:3]
	v_add_f64 v[8:9], v[8:9], v[12:13]
	v_mul_f64 v[12:13], v[198:199], s[34:35]
	v_fma_f64 v[48:49], v[152:153], s[20:21], -v[20:21]
	v_add_f64 v[208:209], v[208:209], v[212:213]
	v_add_f64 v[50:51], v[4:5], v[8:9]
	v_mul_f64 v[8:9], v[196:197], s[22:23]
	v_fma_f64 v[16:17], v[82:83], s[14:15], -v[12:13]
	v_add_f64 v[48:49], v[48:49], v[208:209]
	v_fma_f64 v[4:5], v[80:81], s[18:19], -v[8:9]
	v_add_f64 v[16:17], v[16:17], v[48:49]
	v_add_f64 v[48:49], v[4:5], v[16:17]
	v_fma_f64 v[16:17], v[58:59], s[2:3], -v[22:23]
	v_fma_f64 v[4:5], v[174:175], s[14:15], -v[6:7]
	;; [unrolled: 1-line block ×5, first 2 shown]
	v_add_f64 v[16:17], v[146:147], v[16:17]
	v_add_f64 v[14:15], v[14:15], v[16:17]
	;; [unrolled: 1-line block ×4, first 2 shown]
	v_fma_f64 v[2:3], v[172:173], s[18:19], -v[2:3]
	v_add_f64 v[4:5], v[4:5], v[6:7]
	v_fmac_f64_e32 v[214:215], s[2:3], v[192:193]
	v_add_f64 v[4:5], v[2:3], v[4:5]
	v_fmac_f64_e32 v[210:211], s[28:29], v[158:159]
	v_add_f64 v[2:3], v[144:145], v[214:215]
	v_mul_f64 v[208:209], v[194:195], s[34:35]
	v_fmac_f64_e32 v[178:179], s[6:7], v[154:155]
	v_add_f64 v[2:3], v[210:211], v[2:3]
	v_mul_f64 v[22:23], v[162:163], s[16:17]
	v_fma_f64 v[210:211], s[14:15], v[58:59], v[208:209]
	v_mul_f64 v[222:223], v[206:207], s[34:35]
	v_fmac_f64_e32 v[20:21], s[20:21], v[152:153]
	v_add_f64 v[2:3], v[178:179], v[2:3]
	v_mul_f64 v[18:19], v[190:191], s[30:31]
	v_fma_f64 v[178:179], s[6:7], v[156:157], v[22:23]
	v_add_f64 v[210:211], v[146:147], v[210:211]
	v_mul_f64 v[218:219], v[204:205], s[16:17]
	v_fma_f64 v[224:225], v[192:193], s[14:15], -v[222:223]
	v_fmac_f64_e32 v[12:13], s[14:15], v[82:83]
	v_add_f64 v[2:3], v[20:21], v[2:3]
	v_mul_f64 v[14:15], v[188:189], s[40:41]
	v_fma_f64 v[20:21], s[28:29], v[160:161], v[18:19]
	v_add_f64 v[178:179], v[178:179], v[210:211]
	v_mul_f64 v[214:215], v[202:203], s[30:31]
	v_fma_f64 v[220:221], v[158:159], s[6:7], -v[218:219]
	v_add_f64 v[224:225], v[144:145], v[224:225]
	v_fmac_f64_e32 v[8:9], s[18:19], v[80:81]
	v_add_f64 v[2:3], v[12:13], v[2:3]
	v_mul_f64 v[12:13], v[186:187], s[24:25]
	v_fma_f64 v[16:17], s[18:19], v[166:167], v[14:15]
	v_add_f64 v[20:21], v[20:21], v[178:179]
	v_mul_f64 v[210:211], v[200:201], s[40:41]
	v_fma_f64 v[216:217], v[154:155], s[28:29], -v[214:215]
	v_add_f64 v[220:221], v[220:221], v[224:225]
	v_add_f64 v[2:3], v[8:9], v[2:3]
	v_mul_f64 v[10:11], v[184:185], s[26:27]
	v_fma_f64 v[8:9], s[2:3], v[174:175], v[12:13]
	v_add_f64 v[16:17], v[16:17], v[20:21]
	v_mul_f64 v[20:21], v[198:199], s[24:25]
	v_fma_f64 v[212:213], v[152:153], s[18:19], -v[210:211]
	v_add_f64 v[216:217], v[216:217], v[220:221]
	v_fma_f64 v[6:7], s[20:21], v[172:173], v[10:11]
	v_add_f64 v[8:9], v[8:9], v[16:17]
	v_mul_f64 v[16:17], v[196:197], s[26:27]
	v_fma_f64 v[178:179], v[82:83], s[2:3], -v[20:21]
	v_add_f64 v[212:213], v[212:213], v[216:217]
	v_add_f64 v[8:9], v[6:7], v[8:9]
	v_fma_f64 v[6:7], v[80:81], s[20:21], -v[16:17]
	v_add_f64 v[178:179], v[178:179], v[212:213]
	v_add_f64 v[6:7], v[6:7], v[178:179]
	v_fma_f64 v[178:179], v[58:59], s[14:15], -v[208:209]
	v_fma_f64 v[22:23], v[156:157], s[6:7], -v[22:23]
	v_add_f64 v[178:179], v[146:147], v[178:179]
	v_fma_f64 v[18:19], v[160:161], s[28:29], -v[18:19]
	v_add_f64 v[22:23], v[22:23], v[178:179]
	;; [unrolled: 2-line block ×5, first 2 shown]
	v_fmac_f64_e32 v[222:223], s[14:15], v[192:193]
	v_add_f64 v[12:13], v[10:11], v[12:13]
	v_fmac_f64_e32 v[218:219], s[6:7], v[158:159]
	v_add_f64 v[10:11], v[144:145], v[222:223]
	s_mov_b32 s27, 0xbfddbe06
	v_fmac_f64_e32 v[214:215], s[28:29], v[154:155]
	v_add_f64 v[10:11], v[218:219], v[10:11]
	v_mul_f64 v[18:19], v[184:185], s[30:31]
	v_mul_f64 v[184:185], v[190:191], s[38:39]
	;; [unrolled: 1-line block ×3, first 2 shown]
	v_fmac_f64_e32 v[210:211], s[18:19], v[152:153]
	v_add_f64 v[10:11], v[214:215], v[10:11]
	v_mul_f64 v[162:163], v[162:163], s[34:35]
	v_fma_f64 v[194:195], s[20:21], v[58:59], v[190:191]
	v_fma_f64 v[58:59], v[58:59], s[20:21], -v[190:191]
	v_fmac_f64_e32 v[20:21], s[2:3], v[82:83]
	v_add_f64 v[10:11], v[210:211], v[10:11]
	v_mul_f64 v[22:23], v[188:189], s[16:17]
	v_fma_f64 v[188:189], s[14:15], v[156:157], v[162:163]
	v_fma_f64 v[156:157], v[156:157], s[14:15], -v[162:163]
	v_add_f64 v[58:59], v[146:147], v[58:59]
	v_add_f64 v[10:11], v[20:21], v[10:11]
	v_mul_f64 v[20:21], v[186:187], s[22:23]
	v_fma_f64 v[186:187], s[2:3], v[160:161], v[184:185]
	v_fma_f64 v[160:161], v[160:161], s[2:3], -v[184:185]
	v_add_f64 v[58:59], v[156:157], v[58:59]
	v_fmac_f64_e32 v[16:17], s[20:21], v[80:81]
	v_fma_f64 v[178:179], s[6:7], v[166:167], v[22:23]
	v_fma_f64 v[22:23], v[166:167], s[6:7], -v[22:23]
	v_add_f64 v[58:59], v[160:161], v[58:59]
	v_add_f64 v[10:11], v[16:17], v[10:11]
	v_fma_f64 v[16:17], s[18:19], v[174:175], v[20:21]
	v_fma_f64 v[20:21], v[174:175], s[18:19], -v[20:21]
	v_add_f64 v[22:23], v[22:23], v[58:59]
	v_add_f64 v[20:21], v[20:21], v[22:23]
	;; [unrolled: 1-line block ×24, first 2 shown]
	v_mul_f64 v[206:207], v[206:207], s[26:27]
	v_add_f64 v[22:23], v[22:23], v[54:55]
	v_fma_f64 v[14:15], s[28:29], v[172:173], v[18:19]
	v_add_f64 v[178:179], v[178:179], v[186:187]
	v_mul_f64 v[186:187], v[198:199], s[22:23]
	v_mul_f64 v[198:199], v[202:203], s[38:39]
	;; [unrolled: 1-line block ×3, first 2 shown]
	v_fma_f64 v[208:209], v[192:193], s[20:21], -v[206:207]
	v_fma_f64 v[18:19], v[172:173], s[28:29], -v[18:19]
	v_fmac_f64_e32 v[206:207], s[20:21], v[192:193]
	v_add_f64 v[22:23], v[22:23], v[136:137]
	v_fma_f64 v[204:205], v[158:159], s[14:15], -v[202:203]
	v_add_f64 v[208:209], v[144:145], v[208:209]
	v_add_f64 v[20:21], v[18:19], v[20:21]
	v_fmac_f64_e32 v[202:203], s[14:15], v[158:159]
	v_add_f64 v[18:19], v[144:145], v[206:207]
	v_add_f64 v[22:23], v[22:23], v[64:65]
	v_mul_f64 v[194:195], v[200:201], s[16:17]
	v_fma_f64 v[200:201], v[154:155], s[2:3], -v[198:199]
	v_add_f64 v[204:205], v[204:205], v[208:209]
	v_fmac_f64_e32 v[198:199], s[2:3], v[154:155]
	v_add_f64 v[18:19], v[202:203], v[18:19]
	v_add_f64 v[22:23], v[22:23], v[68:69]
	v_accvgpr_read_b32 v1, a27
	v_add_f64 v[16:17], v[16:17], v[178:179]
	v_mul_f64 v[178:179], v[196:197], s[30:31]
	v_fma_f64 v[196:197], v[152:153], s[6:7], -v[194:195]
	v_add_f64 v[200:201], v[200:201], v[204:205]
	v_fmac_f64_e32 v[194:195], s[6:7], v[152:153]
	v_add_f64 v[18:19], v[198:199], v[18:19]
	v_add_f64 v[54:55], v[22:23], v[60:61]
	v_mul_u32_u24_e32 v1, 26, v1
	v_accvgpr_read_b32 v22, a26
	v_fma_f64 v[188:189], v[82:83], s[18:19], -v[186:187]
	v_add_f64 v[196:197], v[196:197], v[200:201]
	v_fmac_f64_e32 v[186:187], s[18:19], v[82:83]
	v_add_f64 v[18:19], v[194:195], v[18:19]
	v_or_b32_e32 v1, v1, v22
	v_add_f64 v[16:17], v[14:15], v[16:17]
	v_fma_f64 v[14:15], v[80:81], s[28:29], -v[178:179]
	v_add_f64 v[188:189], v[188:189], v[196:197]
	v_fmac_f64_e32 v[178:179], s[28:29], v[80:81]
	v_add_f64 v[18:19], v[186:187], v[18:19]
	v_lshlrev_b32_e32 v1, 4, v1
	v_add_f64 v[14:15], v[14:15], v[188:189]
	v_add_f64 v[18:19], v[178:179], v[18:19]
	ds_write_b128 v1, v[54:57]
	ds_write_b128 v1, v[18:21] offset:32
	ds_write_b128 v1, v[10:13] offset:64
	ds_write_b128 v1, v[2:5] offset:96
	ds_write_b128 v1, v[44:47] offset:128
	ds_write_b128 v1, v[36:39] offset:160
	ds_write_b128 v1, v[28:31] offset:192
	ds_write_b128 v1, v[24:27] offset:224
	ds_write_b128 v1, v[32:35] offset:256
	ds_write_b128 v1, v[40:43] offset:288
	ds_write_b128 v1, v[48:51] offset:320
	ds_write_b128 v1, v[6:9] offset:352
	ds_write_b128 v1, v[14:17] offset:384
.LBB0_21:
	s_or_b64 exec, exec, s[0:1]
	s_waitcnt lgkmcnt(0)
	s_barrier
	ds_read_b128 v[2:5], v176
	ds_read_b128 v[6:9], v176 offset:2912
	ds_read_b128 v[10:13], v176 offset:5824
	;; [unrolled: 1-line block ×6, first 2 shown]
	s_waitcnt lgkmcnt(5)
	v_mul_f64 v[22:23], v[90:91], v[8:9]
	v_fmac_f64_e32 v[22:23], v[88:89], v[6:7]
	v_mul_f64 v[6:7], v[90:91], v[6:7]
	v_fma_f64 v[6:7], v[88:89], v[8:9], -v[6:7]
	s_waitcnt lgkmcnt(4)
	v_mul_f64 v[8:9], v[86:87], v[12:13]
	v_fmac_f64_e32 v[8:9], v[84:85], v[10:11]
	v_mul_f64 v[10:11], v[86:87], v[10:11]
	v_fma_f64 v[10:11], v[84:85], v[12:13], -v[10:11]
	;; [unrolled: 5-line block ×6, first 2 shown]
	v_add_f64 v[36:37], v[22:23], v[32:33]
	v_add_f64 v[22:23], v[22:23], -v[32:33]
	v_add_f64 v[32:33], v[8:9], v[20:21]
	v_add_f64 v[38:39], v[6:7], v[34:35]
	v_add_f64 v[6:7], v[6:7], -v[34:35]
	v_add_f64 v[34:35], v[10:11], v[30:31]
	v_add_f64 v[8:9], v[8:9], -v[20:21]
	;; [unrolled: 2-line block ×3, first 2 shown]
	v_add_f64 v[16:17], v[32:33], v[36:37]
	v_mad_u64_u32 v[26:27], s[0:1], s10, v182, 0
	v_add_f64 v[10:11], v[10:11], -v[30:31]
	v_add_f64 v[30:31], v[14:15], v[18:19]
	v_add_f64 v[14:15], v[18:19], -v[14:15]
	v_add_f64 v[18:19], v[34:35], v[38:39]
	v_add_f64 v[16:17], v[20:21], v[16:17]
	v_mov_b32_e32 v24, s12
	v_mov_b32_e32 v25, s13
	v_add_f64 v[18:19], v[30:31], v[18:19]
	v_add_f64 v[2:3], v[2:3], v[16:17]
	s_mov_b32 s2, 0x37e14327
	s_mov_b32 s0, 0x36b3c0b5
	;; [unrolled: 1-line block ×5, first 2 shown]
	v_add_f64 v[40:41], v[32:33], -v[36:37]
	v_add_f64 v[42:43], v[34:35], -v[38:39]
	;; [unrolled: 1-line block ×6, first 2 shown]
	v_add_f64 v[44:45], v[12:13], v[8:9]
	v_add_f64 v[46:47], v[14:15], v[10:11]
	v_add_f64 v[48:49], v[12:13], -v[8:9]
	v_add_f64 v[50:51], v[14:15], -v[10:11]
	;; [unrolled: 1-line block ×4, first 2 shown]
	v_add_f64 v[4:5], v[4:5], v[18:19]
	s_mov_b32 s3, 0x3fe948f6
	s_mov_b32 s1, 0x3fac98ee
	;; [unrolled: 1-line block ×5, first 2 shown]
	v_mov_b64_e32 v[52:53], v[2:3]
	s_mov_b32 s16, 0x5476071b
	s_mov_b32 s20, 0xb247c609
	v_add_f64 v[12:13], v[22:23], -v[12:13]
	v_add_f64 v[14:15], v[6:7], -v[14:15]
	v_add_f64 v[20:21], v[44:45], v[22:23]
	v_add_f64 v[6:7], v[46:47], v[6:7]
	v_mul_f64 v[22:23], v[36:37], s[2:3]
	v_mul_f64 v[30:31], v[38:39], s[2:3]
	;; [unrolled: 1-line block ×8, first 2 shown]
	v_fmac_f64_e32 v[52:53], s[14:15], v[16:17]
	v_mov_b64_e32 v[16:17], v[4:5]
	s_mov_b32 s17, 0x3fe77f67
	s_mov_b32 s19, 0xbfe77f67
	;; [unrolled: 1-line block ×7, first 2 shown]
	v_fmac_f64_e32 v[16:17], s[14:15], v[18:19]
	v_fma_f64 v[18:19], v[40:41], s[16:17], -v[36:37]
	v_fma_f64 v[36:37], v[42:43], s[16:17], -v[38:39]
	;; [unrolled: 1-line block ×3, first 2 shown]
	v_fmac_f64_e32 v[22:23], s[0:1], v[32:33]
	v_fma_f64 v[32:33], v[42:43], s[18:19], -v[30:31]
	v_fmac_f64_e32 v[30:31], s[0:1], v[34:35]
	v_fma_f64 v[34:35], v[8:9], s[6:7], -v[44:45]
	;; [unrolled: 2-line block ×4, first 2 shown]
	v_fma_f64 v[48:49], v[14:15], s[24:25], -v[50:51]
	s_mov_b32 s23, 0xbfdc38aa
	v_add_f64 v[22:23], v[22:23], v[52:53]
	v_add_f64 v[50:51], v[30:31], v[16:17]
	;; [unrolled: 1-line block ×6, first 2 shown]
	v_fmac_f64_e32 v[44:45], s[22:23], v[20:21]
	v_fmac_f64_e32 v[46:47], s[22:23], v[6:7]
	;; [unrolled: 1-line block ×6, first 2 shown]
	v_add_f64 v[6:7], v[46:47], v[22:23]
	v_add_f64 v[8:9], v[50:51], -v[44:45]
	v_add_f64 v[10:11], v[48:49], v[36:37]
	v_add_f64 v[12:13], v[32:33], -v[42:43]
	v_add_f64 v[14:15], v[18:19], -v[40:41]
	v_add_f64 v[16:17], v[34:35], v[30:31]
	v_add_f64 v[18:19], v[40:41], v[18:19]
	v_add_f64 v[20:21], v[30:31], -v[34:35]
	v_add_f64 v[30:31], v[36:37], -v[48:49]
	v_add_f64 v[32:33], v[42:43], v[32:33]
	v_add_f64 v[34:35], v[22:23], -v[46:47]
	v_add_f64 v[36:37], v[44:45], v[50:51]
	s_barrier
	ds_write_b128 v0, v[2:5]
	ds_write_b128 v0, v[6:9] offset:416
	ds_write_b128 v0, v[10:13] offset:832
	;; [unrolled: 1-line block ×6, first 2 shown]
	s_waitcnt lgkmcnt(0)
	s_barrier
	ds_read_b128 v[0:3], v176
	ds_read_b128 v[4:7], v176 offset:2912
	ds_read_b128 v[8:11], v176 offset:5824
	;; [unrolled: 1-line block ×6, first 2 shown]
	s_waitcnt lgkmcnt(5)
	v_mul_f64 v[34:35], v[122:123], v[6:7]
	v_fmac_f64_e32 v[34:35], v[120:121], v[4:5]
	v_mul_f64 v[4:5], v[122:123], v[4:5]
	v_fma_f64 v[4:5], v[120:121], v[6:7], -v[4:5]
	s_waitcnt lgkmcnt(4)
	v_mul_f64 v[6:7], v[118:119], v[10:11]
	v_fmac_f64_e32 v[6:7], v[116:117], v[8:9]
	v_mul_f64 v[8:9], v[118:119], v[8:9]
	v_fma_f64 v[8:9], v[116:117], v[10:11], -v[8:9]
	;; [unrolled: 5-line block ×6, first 2 shown]
	v_add_f64 v[32:33], v[34:35], v[22:23]
	v_add_f64 v[36:37], v[4:5], v[30:31]
	v_add_f64 v[4:5], v[4:5], -v[30:31]
	v_add_f64 v[30:31], v[6:7], v[18:19]
	v_add_f64 v[22:23], v[34:35], -v[22:23]
	;; [unrolled: 2-line block ×6, first 2 shown]
	v_add_f64 v[16:17], v[34:35], v[36:37]
	v_add_f64 v[14:15], v[18:19], v[14:15]
	;; [unrolled: 1-line block ×4, first 2 shown]
	v_add_f64 v[38:39], v[30:31], -v[32:33]
	v_add_f64 v[40:41], v[34:35], -v[36:37]
	;; [unrolled: 1-line block ×6, first 2 shown]
	v_add_f64 v[42:43], v[10:11], v[6:7]
	v_add_f64 v[44:45], v[12:13], v[8:9]
	v_add_f64 v[46:47], v[10:11], -v[6:7]
	v_add_f64 v[48:49], v[12:13], -v[8:9]
	;; [unrolled: 1-line block ×4, first 2 shown]
	v_add_f64 v[2:3], v[2:3], v[16:17]
	v_mov_b64_e32 v[50:51], v[0:1]
	v_add_f64 v[10:11], v[22:23], -v[10:11]
	v_add_f64 v[12:13], v[4:5], -v[12:13]
	v_add_f64 v[18:19], v[42:43], v[22:23]
	v_add_f64 v[4:5], v[44:45], v[4:5]
	v_mul_f64 v[20:21], v[32:33], s[2:3]
	v_mul_f64 v[22:23], v[36:37], s[2:3]
	;; [unrolled: 1-line block ×8, first 2 shown]
	v_fmac_f64_e32 v[50:51], s[14:15], v[14:15]
	v_mov_b64_e32 v[14:15], v[2:3]
	v_fmac_f64_e32 v[14:15], s[14:15], v[16:17]
	v_fma_f64 v[16:17], s[0:1], v[30:31], v[20:21]
	v_fma_f64 v[30:31], v[38:39], s[16:17], -v[32:33]
	v_fma_f64 v[32:33], v[40:41], s[16:17], -v[36:37]
	;; [unrolled: 1-line block ×4, first 2 shown]
	v_fmac_f64_e32 v[22:23], s[0:1], v[34:35]
	v_fma_f64 v[34:35], s[20:21], v[10:11], v[42:43]
	v_fma_f64 v[38:39], v[6:7], s[6:7], -v[42:43]
	v_fma_f64 v[40:41], v[8:9], s[6:7], -v[44:45]
	v_fmac_f64_e32 v[44:45], s[20:21], v[12:13]
	v_fma_f64 v[42:43], v[10:11], s[24:25], -v[46:47]
	v_fma_f64 v[46:47], v[12:13], s[24:25], -v[48:49]
	v_add_f64 v[48:49], v[16:17], v[50:51]
	v_add_f64 v[52:53], v[22:23], v[14:15]
	;; [unrolled: 1-line block ×6, first 2 shown]
	v_fmac_f64_e32 v[34:35], s[22:23], v[18:19]
	v_fmac_f64_e32 v[44:45], s[22:23], v[4:5]
	;; [unrolled: 1-line block ×6, first 2 shown]
	v_add_f64 v[4:5], v[44:45], v[48:49]
	v_add_f64 v[6:7], v[52:53], -v[34:35]
	v_add_f64 v[8:9], v[46:47], v[20:21]
	v_add_f64 v[10:11], v[30:31], -v[42:43]
	v_add_f64 v[12:13], v[16:17], -v[40:41]
	v_add_f64 v[14:15], v[38:39], v[22:23]
	v_add_f64 v[16:17], v[40:41], v[16:17]
	v_add_f64 v[18:19], v[22:23], -v[38:39]
	v_add_f64 v[20:21], v[20:21], -v[46:47]
	v_add_f64 v[22:23], v[42:43], v[30:31]
	v_add_f64 v[30:31], v[48:49], -v[44:45]
	v_add_f64 v[32:33], v[34:35], v[52:53]
	ds_write_b128 v176, v[0:3]
	ds_write_b128 v176, v[4:7] offset:2912
	ds_write_b128 v176, v[8:11] offset:5824
	ds_write_b128 v176, v[12:15] offset:8736
	ds_write_b128 v176, v[16:19] offset:11648
	ds_write_b128 v176, v[20:23] offset:14560
	ds_write_b128 v176, v[30:33] offset:17472
	s_waitcnt lgkmcnt(0)
	s_barrier
	ds_read_b128 v[0:3], v176
	v_mov_b32_e32 v28, v27
	v_accvgpr_read_b32 v13, a9
	v_mad_u64_u32 v[4:5], s[0:1], s11, v182, v[28:29]
	v_accvgpr_read_b32 v12, a8
	v_mov_b32_e32 v27, v4
	ds_read_b128 v[4:7], v176 offset:2912
	v_accvgpr_read_b32 v11, a7
	v_accvgpr_read_b32 v10, a6
	s_waitcnt lgkmcnt(1)
	v_mul_f64 v[8:9], v[12:13], v[2:3]
	v_fmac_f64_e32 v[8:9], v[10:11], v[0:1]
	s_mov_b32 s0, 0xf5262dd1
	v_mul_f64 v[0:1], v[12:13], v[0:1]
	s_mov_b32 s1, 0x3f49b876
	v_fma_f64 v[0:1], v[10:11], v[2:3], -v[0:1]
	v_mad_u64_u32 v[12:13], s[2:3], s8, v180, 0
	v_mul_f64 v[10:11], v[0:1], s[0:1]
	v_mov_b32_e32 v0, v13
	v_mad_u64_u32 v[0:1], s[2:3], s9, v180, v[0:1]
	v_mov_b32_e32 v13, v0
	ds_read_b128 v[0:3], v176 offset:10192
	v_lshl_add_u64 v[14:15], v[26:27], 4, v[24:25]
	v_accvgpr_read_b32 v21, a5
	v_mul_f64 v[8:9], v[8:9], s[0:1]
	v_lshl_add_u64 v[16:17], v[12:13], 4, v[14:15]
	v_accvgpr_read_b32 v20, a4
	global_store_dwordx4 v[16:17], v[8:11], off
	ds_read_b128 v[8:11], v176 offset:5824
	v_accvgpr_read_b32 v19, a3
	v_accvgpr_read_b32 v18, a2
	s_waitcnt lgkmcnt(1)
	v_mul_f64 v[12:13], v[20:21], v[2:3]
	s_mul_i32 s2, s9, 0x27d
	s_mul_hi_u32 s3, s8, 0x27d
	v_fmac_f64_e32 v[12:13], v[18:19], v[0:1]
	v_mul_f64 v[0:1], v[20:21], v[0:1]
	s_add_i32 s3, s3, s2
	s_mul_i32 s2, s8, 0x27d
	v_fma_f64 v[0:1], v[18:19], v[2:3], -v[0:1]
	s_lshl_b64 s[10:11], s[2:3], 4
	v_mul_f64 v[12:13], v[12:13], s[0:1]
	v_mul_f64 v[14:15], v[0:1], s[0:1]
	v_lshl_add_u64 v[16:17], v[16:17], 0, s[10:11]
	global_store_dwordx4 v[16:17], v[12:15], off
	s_mul_hi_u32 s7, s8, 0xfffffe39
	s_mul_i32 s6, s9, 0xfffffe39
	v_accvgpr_read_b32 v15, a13
	v_accvgpr_read_b32 v14, a12
	;; [unrolled: 1-line block ×4, first 2 shown]
	v_mul_f64 v[0:1], v[14:15], v[6:7]
	v_mul_f64 v[2:3], v[14:15], v[4:5]
	v_fmac_f64_e32 v[0:1], v[12:13], v[4:5]
	v_fma_f64 v[2:3], v[12:13], v[6:7], -v[2:3]
	ds_read_b128 v[4:7], v176 offset:13104
	s_sub_i32 s7, s7, s8
	s_add_i32 s7, s7, s6
	s_mul_i32 s6, s8, 0xfffffe39
	s_lshl_b64 s[8:9], s[6:7], 4
	v_accvgpr_read_b32 v21, a17
	v_mul_f64 v[0:1], v[0:1], s[0:1]
	v_mul_f64 v[2:3], v[2:3], s[0:1]
	v_lshl_add_u64 v[16:17], v[16:17], 0, s[8:9]
	v_accvgpr_read_b32 v20, a16
	global_store_dwordx4 v[16:17], v[0:3], off
	ds_read_b128 v[0:3], v176 offset:16016
	v_accvgpr_read_b32 v19, a15
	v_accvgpr_read_b32 v18, a14
	s_waitcnt lgkmcnt(1)
	v_mul_f64 v[12:13], v[20:21], v[6:7]
	v_fmac_f64_e32 v[12:13], v[18:19], v[4:5]
	v_mul_f64 v[4:5], v[20:21], v[4:5]
	v_fma_f64 v[4:5], v[18:19], v[6:7], -v[4:5]
	v_mul_f64 v[12:13], v[12:13], s[0:1]
	v_mul_f64 v[14:15], v[4:5], s[0:1]
	v_lshl_add_u64 v[16:17], v[16:17], 0, s[10:11]
	global_store_dwordx4 v[16:17], v[12:15], off
	s_nop 1
	v_accvgpr_read_b32 v12, a18
	v_accvgpr_read_b32 v14, a20
	v_accvgpr_read_b32 v15, a21
	v_accvgpr_read_b32 v13, a19
	v_mul_f64 v[4:5], v[14:15], v[10:11]
	v_mul_f64 v[6:7], v[14:15], v[8:9]
	v_fmac_f64_e32 v[4:5], v[12:13], v[8:9]
	v_fma_f64 v[6:7], v[12:13], v[10:11], -v[6:7]
	v_accvgpr_read_b32 v10, a22
	v_mul_f64 v[4:5], v[4:5], s[0:1]
	v_mul_f64 v[6:7], v[6:7], s[0:1]
	v_lshl_add_u64 v[8:9], v[16:17], 0, s[8:9]
	v_accvgpr_read_b32 v12, a24
	v_accvgpr_read_b32 v13, a25
	global_store_dwordx4 v[8:9], v[4:7], off
	v_accvgpr_read_b32 v11, a23
	s_waitcnt lgkmcnt(0)
	v_mul_f64 v[4:5], v[12:13], v[2:3]
	v_fmac_f64_e32 v[4:5], v[10:11], v[0:1]
	v_mul_f64 v[0:1], v[12:13], v[0:1]
	v_fma_f64 v[0:1], v[10:11], v[2:3], -v[0:1]
	v_mul_f64 v[4:5], v[4:5], s[0:1]
	v_mul_f64 v[6:7], v[0:1], s[0:1]
	v_lshl_add_u64 v[0:1], v[8:9], 0, s[10:11]
	global_store_dwordx4 v[0:1], v[4:7], off
	s_and_b64 exec, exec, s[4:5]
	s_cbranch_execz .LBB0_23
; %bb.22:
	v_accvgpr_read_b32 v7, a1
	v_accvgpr_read_b32 v6, a0
	v_add_co_u32_e32 v2, vcc, 0x2000, v6
	s_movk_i32 s4, 0x4000
	s_nop 0
	v_addc_co_u32_e32 v3, vcc, 0, v7, vcc
	v_add_co_u32_e32 v6, vcc, s4, v6
	global_load_dwordx4 v[2:5], v[2:3], off offset:544
	s_nop 0
	v_addc_co_u32_e32 v7, vcc, 0, v7, vcc
	global_load_dwordx4 v[6:9], v[6:7], off offset:2544
	ds_read_b128 v[10:13], v176 offset:8736
	ds_read_b128 v[14:17], v176 offset:18928
	v_lshl_add_u64 v[18:19], s[6:7], 4, v[0:1]
	v_lshl_add_u64 v[20:21], s[2:3], 4, v[18:19]
	s_waitcnt vmcnt(1) lgkmcnt(1)
	v_mul_f64 v[0:1], v[12:13], v[4:5]
	v_mul_f64 v[4:5], v[10:11], v[4:5]
	v_fmac_f64_e32 v[0:1], v[10:11], v[2:3]
	s_waitcnt vmcnt(0) lgkmcnt(0)
	v_mul_f64 v[22:23], v[16:17], v[8:9]
	v_mul_f64 v[8:9], v[14:15], v[8:9]
	v_fma_f64 v[2:3], v[2:3], v[12:13], -v[4:5]
	v_fmac_f64_e32 v[22:23], v[14:15], v[6:7]
	v_fma_f64 v[6:7], v[6:7], v[16:17], -v[8:9]
	v_mul_f64 v[0:1], v[0:1], s[0:1]
	v_mul_f64 v[2:3], v[2:3], s[0:1]
	;; [unrolled: 1-line block ×4, first 2 shown]
	global_store_dwordx4 v[18:19], v[0:3], off
	global_store_dwordx4 v[20:21], v[4:7], off
.LBB0_23:
	s_endpgm
	.section	.rodata,"a",@progbits
	.p2align	6, 0x0
	.amdhsa_kernel bluestein_single_fwd_len1274_dim1_dp_op_CI_CI
		.amdhsa_group_segment_fixed_size 20384
		.amdhsa_private_segment_fixed_size 0
		.amdhsa_kernarg_size 104
		.amdhsa_user_sgpr_count 2
		.amdhsa_user_sgpr_dispatch_ptr 0
		.amdhsa_user_sgpr_queue_ptr 0
		.amdhsa_user_sgpr_kernarg_segment_ptr 1
		.amdhsa_user_sgpr_dispatch_id 0
		.amdhsa_user_sgpr_kernarg_preload_length 0
		.amdhsa_user_sgpr_kernarg_preload_offset 0
		.amdhsa_user_sgpr_private_segment_size 0
		.amdhsa_uses_dynamic_stack 0
		.amdhsa_enable_private_segment 0
		.amdhsa_system_sgpr_workgroup_id_x 1
		.amdhsa_system_sgpr_workgroup_id_y 0
		.amdhsa_system_sgpr_workgroup_id_z 0
		.amdhsa_system_sgpr_workgroup_info 0
		.amdhsa_system_vgpr_workitem_id 0
		.amdhsa_next_free_vgpr 330
		.amdhsa_next_free_sgpr 46
		.amdhsa_accum_offset 256
		.amdhsa_reserve_vcc 1
		.amdhsa_float_round_mode_32 0
		.amdhsa_float_round_mode_16_64 0
		.amdhsa_float_denorm_mode_32 3
		.amdhsa_float_denorm_mode_16_64 3
		.amdhsa_dx10_clamp 1
		.amdhsa_ieee_mode 1
		.amdhsa_fp16_overflow 0
		.amdhsa_tg_split 0
		.amdhsa_exception_fp_ieee_invalid_op 0
		.amdhsa_exception_fp_denorm_src 0
		.amdhsa_exception_fp_ieee_div_zero 0
		.amdhsa_exception_fp_ieee_overflow 0
		.amdhsa_exception_fp_ieee_underflow 0
		.amdhsa_exception_fp_ieee_inexact 0
		.amdhsa_exception_int_div_zero 0
	.end_amdhsa_kernel
	.text
.Lfunc_end0:
	.size	bluestein_single_fwd_len1274_dim1_dp_op_CI_CI, .Lfunc_end0-bluestein_single_fwd_len1274_dim1_dp_op_CI_CI
                                        ; -- End function
	.section	.AMDGPU.csdata,"",@progbits
; Kernel info:
; codeLenInByte = 17104
; NumSgprs: 52
; NumVgprs: 256
; NumAgprs: 74
; TotalNumVgprs: 330
; ScratchSize: 0
; MemoryBound: 0
; FloatMode: 240
; IeeeMode: 1
; LDSByteSize: 20384 bytes/workgroup (compile time only)
; SGPRBlocks: 6
; VGPRBlocks: 41
; NumSGPRsForWavesPerEU: 52
; NumVGPRsForWavesPerEU: 330
; AccumOffset: 256
; Occupancy: 1
; WaveLimiterHint : 1
; COMPUTE_PGM_RSRC2:SCRATCH_EN: 0
; COMPUTE_PGM_RSRC2:USER_SGPR: 2
; COMPUTE_PGM_RSRC2:TRAP_HANDLER: 0
; COMPUTE_PGM_RSRC2:TGID_X_EN: 1
; COMPUTE_PGM_RSRC2:TGID_Y_EN: 0
; COMPUTE_PGM_RSRC2:TGID_Z_EN: 0
; COMPUTE_PGM_RSRC2:TIDIG_COMP_CNT: 0
; COMPUTE_PGM_RSRC3_GFX90A:ACCUM_OFFSET: 63
; COMPUTE_PGM_RSRC3_GFX90A:TG_SPLIT: 0
	.text
	.p2alignl 6, 3212836864
	.fill 256, 4, 3212836864
	.type	__hip_cuid_8884db090a137078,@object ; @__hip_cuid_8884db090a137078
	.section	.bss,"aw",@nobits
	.globl	__hip_cuid_8884db090a137078
__hip_cuid_8884db090a137078:
	.byte	0                               ; 0x0
	.size	__hip_cuid_8884db090a137078, 1

	.ident	"AMD clang version 19.0.0git (https://github.com/RadeonOpenCompute/llvm-project roc-6.4.0 25133 c7fe45cf4b819c5991fe208aaa96edf142730f1d)"
	.section	".note.GNU-stack","",@progbits
	.addrsig
	.addrsig_sym __hip_cuid_8884db090a137078
	.amdgpu_metadata
---
amdhsa.kernels:
  - .agpr_count:     74
    .args:
      - .actual_access:  read_only
        .address_space:  global
        .offset:         0
        .size:           8
        .value_kind:     global_buffer
      - .actual_access:  read_only
        .address_space:  global
        .offset:         8
        .size:           8
        .value_kind:     global_buffer
      - .actual_access:  read_only
        .address_space:  global
        .offset:         16
        .size:           8
        .value_kind:     global_buffer
      - .actual_access:  read_only
        .address_space:  global
        .offset:         24
        .size:           8
        .value_kind:     global_buffer
      - .actual_access:  read_only
        .address_space:  global
        .offset:         32
        .size:           8
        .value_kind:     global_buffer
      - .offset:         40
        .size:           8
        .value_kind:     by_value
      - .address_space:  global
        .offset:         48
        .size:           8
        .value_kind:     global_buffer
      - .address_space:  global
        .offset:         56
        .size:           8
        .value_kind:     global_buffer
      - .address_space:  global
        .offset:         64
        .size:           8
        .value_kind:     global_buffer
      - .address_space:  global
        .offset:         72
        .size:           8
        .value_kind:     global_buffer
      - .offset:         80
        .size:           4
        .value_kind:     by_value
      - .address_space:  global
        .offset:         88
        .size:           8
        .value_kind:     global_buffer
      - .address_space:  global
        .offset:         96
        .size:           8
        .value_kind:     global_buffer
    .group_segment_fixed_size: 20384
    .kernarg_segment_align: 8
    .kernarg_segment_size: 104
    .language:       OpenCL C
    .language_version:
      - 2
      - 0
    .max_flat_workgroup_size: 182
    .name:           bluestein_single_fwd_len1274_dim1_dp_op_CI_CI
    .private_segment_fixed_size: 0
    .sgpr_count:     52
    .sgpr_spill_count: 0
    .symbol:         bluestein_single_fwd_len1274_dim1_dp_op_CI_CI.kd
    .uniform_work_group_size: 1
    .uses_dynamic_stack: false
    .vgpr_count:     330
    .vgpr_spill_count: 0
    .wavefront_size: 64
amdhsa.target:   amdgcn-amd-amdhsa--gfx950
amdhsa.version:
  - 1
  - 2
...

	.end_amdgpu_metadata
